;; amdgpu-corpus repo=ROCm/aiter kind=harvested arch=n/a opt=n/a

/root/src/amdgpu-assembly/repos/ROCm__aiter/hsa/gfx950/bf16gemm/bf16gemm_bf16_tn_256x256.co:	file format elf64-amdgpu

Disassembly of section .text:

0000000000002900 <_ZN5aiter24bf16gemm_bf16_tn_256x256E>:
	s_mov_b32 s46, s2                                          // 000000002900: BEAE0002
	s_mov_b32 s47, s3                                          // 000000002904: BEAF0003
	s_mov_b32 s51, s4                                          // 000000002908: BEB30004
	s_and_b32 s1, s1, 0xffff                                   // 00000000290C: 8601FF01 0000FFFF
	s_load_dwordx2 s[4:5], s[0:1], 0x0                         // 000000002914: C0060100 00000000
	s_load_dwordx2 s[8:9], s[0:1], 0x10                        // 00000000291C: C0060200 00000010
	s_load_dwordx2 s[12:13], s[0:1], 0x20                      // 000000002924: C0060300 00000020
	s_load_dwordx2 s[16:17], s[0:1], 0x30                      // 00000000292C: C0060400 00000030
	s_load_dword s38, s[0:1], 0x40                             // 000000002934: C0020980 00000040
	s_load_dword s39, s[0:1], 0x50                             // 00000000293C: C00209C0 00000050
	s_load_dword s40, s[0:1], 0x80                             // 000000002944: C0020A00 00000080
	s_load_dword s41, s[0:1], 0xa0                             // 00000000294C: C0020A40 000000A0
	s_load_dword s42, s[0:1], 0xc0                             // 000000002954: C0020A80 000000C0
	s_load_dword s43, s[0:1], 0xe0                             // 00000000295C: C0020AC0 000000E0
	s_load_dword s44, s[0:1], 0xf0                             // 000000002964: C0020B00 000000F0
	s_load_dword s45, s[0:1], 0x100                            // 00000000296C: C0020B40 00000100
	s_load_dword s58, s[0:1], 0x110                            // 000000002974: C0020E80 00000110
	s_load_dword s59, s[0:1], 0x120                            // 00000000297C: C0020EC0 00000120
	v_lshrrev_b32_e32 v1, 10, v0                               // 000000002984: 2002008A
	v_lshrrev_b32_e32 v2, 10, v1                               // 000000002988: 2004028A
	v_and_b32_e32 v2, 0x3ff, v2                                // 00000000298C: 260404FF 000003FF
	v_and_b32_e32 v1, 0x3ff, v1                                // 000000002994: 260202FF 000003FF
	v_and_b32_e32 v0, 0x3ff, v0                                // 00000000299C: 260000FF 000003FF
	v_lshrrev_b32_e32 v3, 6, v0                                // 0000000029A4: 20060086
	v_and_b32_e32 v0, 63, v0                                   // 0000000029A8: 260000BF
	v_readfirstlane_b32 s48, v3                                // 0000000029AC: 7E600503
	s_waitcnt lgkmcnt(0)                                       // 0000000029B0: BF8CC07F
	s_add_u32 s51, s44, 0xff                                   // 0000000029B4: 8033FF2C 000000FF
	s_lshr_b32 s51, s51, 8                                     // 0000000029BC: 8F338833
	s_mul_i32 s54, s51, s47                                    // 0000000029C0: 92362F33
	s_add_i32 s54, s54, s46                                    // 0000000029C4: 81362E36
	s_lshr_b32 s55, s51, 5                                     // 0000000029C8: 8F378533
	s_lshl_b32 s55, s55, 5                                     // 0000000029CC: 8E378537
	s_sub_i32 s56, s51, s55                                    // 0000000029D0: 81B83733
	s_add_u32 s53, s43, 0xff                                   // 0000000029D4: 8035FF2B 000000FF
	s_lshr_b32 s53, s53, 8                                     // 0000000029DC: 8F358835
	s_mul_i32 s57, s55, s53                                    // 0000000029E0: 92393537
	s_cmp_lt_i32 s54, s57                                      // 0000000029E4: BF043936
	s_cbranch_scc0 label_0060                                  // 0000000029E8: BF840025
	s_lshr_b32 s51, s54, 5                                     // 0000000029EC: 8F338536
	v_cvt_f32_u32_e32 v4, s53                                  // 0000000029F0: 7E080C35
	s_sub_i32 s52, 0, s53                                      // 0000000029F4: 81B43580
	v_rcp_iflag_f32_e32 v4, v4                                 // 0000000029F8: 7E084704
	s_nop 0                                                    // 0000000029FC: BF800000
	v_mul_f32_e32 v4, 0x4f7ffffe, v4                           // 000000002A00: 0A0808FF 4F7FFFFE
	v_cvt_u32_f32_e32 v4, v4                                   // 000000002A08: 7E080F04
	v_mul_lo_u32 v5, s52, v4                                   // 000000002A0C: D2850005 00020834
	v_mul_hi_u32 v5, v4, v5                                    // 000000002A14: D2860005 00020B04
	v_add_u32_e32 v4, v4, v5                                   // 000000002A1C: 68080B04
	v_mul_hi_u32 v4, s51, v4                                   // 000000002A20: D2860004 00020833
	v_mul_lo_u32 v5, v4, s53                                   // 000000002A28: D2850005 00006B04
	v_sub_u32_e32 v7, s51, v5                                  // 000000002A30: 6A0E0A33
	v_add_u32_e32 v6, 1, v4                                    // 000000002A34: 680C0881
	v_cmp_le_u32_e32 vcc, s53, v7                              // 000000002A38: 7D960E35
	v_subrev_u32_e32 v5, s53, v7                               // 000000002A3C: 6C0A0E35
	s_nop 0                                                    // 000000002A40: BF800000
	v_cndmask_b32_e32 v4, v4, v6, vcc                          // 000000002A44: 00080D04
	v_cndmask_b32_e32 v7, v7, v5, vcc                          // 000000002A48: 000E0B07
	v_add_u32_e32 v5, 1, v4                                    // 000000002A4C: 680A0881
	v_cmp_le_u32_e32 vcc, s53, v7                              // 000000002A50: 7D960E35
	s_nop 1                                                    // 000000002A54: BF800001
	v_cndmask_b32_e32 v7, v4, v5, vcc                          // 000000002A58: 000E0B04
	s_nop 3                                                    // 000000002A5C: BF800003
	v_readfirstlane_b32 s52, v7                                // 000000002A60: 7E680507
	s_nop 3                                                    // 000000002A64: BF800003
	s_mul_i32 s47, s53, s52                                    // 000000002A68: 922F3435
	s_sub_i32 s47, s51, s47                                    // 000000002A6C: 81AF2F33
	s_and_b32 s51, s54, 31                                     // 000000002A70: 86339F36
	s_lshl_b32 s46, s52, 5                                     // 000000002A74: 8E2E8534
	s_add_i32 s46, s46, s51                                    // 000000002A78: 812E332E
	s_branch label_0082                                        // 000000002A7C: BF820022

0000000000002a80 <label_0060>:
	s_sub_i32 s51, s54, s57                                    // 000000002A80: 81B33936
	v_cvt_f32_u32_e32 v4, s56                                  // 000000002A84: 7E080C38
	s_sub_i32 s47, 0, s56                                      // 000000002A88: 81AF3880
	v_rcp_iflag_f32_e32 v4, v4                                 // 000000002A8C: 7E084704
	s_nop 0                                                    // 000000002A90: BF800000
	v_mul_f32_e32 v4, 0x4f7ffffe, v4                           // 000000002A94: 0A0808FF 4F7FFFFE
	v_cvt_u32_f32_e32 v4, v4                                   // 000000002A9C: 7E080F04
	v_mul_lo_u32 v5, s47, v4                                   // 000000002AA0: D2850005 0002082F
	v_mul_hi_u32 v5, v4, v5                                    // 000000002AA8: D2860005 00020B04
	v_add_u32_e32 v4, v4, v5                                   // 000000002AB0: 68080B04
	v_mul_hi_u32 v4, s51, v4                                   // 000000002AB4: D2860004 00020833
	v_mul_lo_u32 v5, v4, s56                                   // 000000002ABC: D2850005 00007104
	v_sub_u32_e32 v7, s51, v5                                  // 000000002AC4: 6A0E0A33
	v_add_u32_e32 v6, 1, v4                                    // 000000002AC8: 680C0881
	v_cmp_le_u32_e32 vcc, s56, v7                              // 000000002ACC: 7D960E38
	v_subrev_u32_e32 v5, s56, v7                               // 000000002AD0: 6C0A0E38
	s_nop 0                                                    // 000000002AD4: BF800000
	v_cndmask_b32_e32 v4, v4, v6, vcc                          // 000000002AD8: 00080D04
	v_cndmask_b32_e32 v7, v7, v5, vcc                          // 000000002ADC: 000E0B07
	v_add_u32_e32 v5, 1, v4                                    // 000000002AE0: 680A0881
	v_cmp_le_u32_e32 vcc, s56, v7                              // 000000002AE4: 7D960E38
	s_nop 1                                                    // 000000002AE8: BF800001
	v_cndmask_b32_e32 v7, v4, v5, vcc                          // 000000002AEC: 000E0B04
	s_nop 3                                                    // 000000002AF0: BF800003
	v_readfirstlane_b32 s47, v7                                // 000000002AF4: 7E5E0507
	s_nop 3                                                    // 000000002AF8: BF800003
	s_mul_i32 s52, s56, s47                                    // 000000002AFC: 92342F38
	s_sub_i32 s46, s51, s52                                    // 000000002B00: 81AE3433
	s_add_i32 s46, s55, s46                                    // 000000002B04: 812E2E37

0000000000002b08 <label_0082>:
	s_mov_b32 s6, -16                                          // 000000002B08: BE8600D0
	s_mov_b32 s10, -16                                         // 000000002B0C: BE8A00D0
	s_mov_b32 s18, -16                                         // 000000002B10: BE9200D0
	s_mov_b32 s14, -16                                         // 000000002B14: BE8E00D0
	s_mov_b32 s7, 0x20000                                      // 000000002B18: BE8700FF 00020000
	s_mov_b32 s11, 0x20000                                     // 000000002B20: BE8B00FF 00020000
	s_mov_b32 s19, 0x20000                                     // 000000002B28: BE9300FF 00020000
	s_mov_b32 s15, 0x20000                                     // 000000002B30: BE8F00FF 00020000
	s_and_b32 s5, s5, 0xffff                                   // 000000002B38: 8605FF05 0000FFFF
	s_and_b32 s9, s9, 0xffff                                   // 000000002B40: 8609FF09 0000FFFF
	s_and_b32 s17, s17, 0xffff                                 // 000000002B48: 8611FF11 0000FFFF
	s_and_b32 s13, s13, 0xffff                                 // 000000002B50: 860DFF0D 0000FFFF
	s_or_b32 s5, s5, 0x40000                                   // 000000002B58: 8705FF05 00040000
	s_or_b32 s9, s9, 0x40000                                   // 000000002B60: 8709FF09 00040000
	s_or_b32 s17, s17, 0x40000                                 // 000000002B68: 8711FF11 00040000
	s_or_b32 s13, s13, 0x40000                                 // 000000002B70: 870DFF0D 00040000
	s_mul_i32 s51, s41, s43                                    // 000000002B78: 92332B29
	s_mov_b32 s14, s51                                         // 000000002B7C: BE8E0033
	s_mul_i32 s51, s42, s44                                    // 000000002B80: 92332C2A
	s_mov_b32 s18, s51                                         // 000000002B84: BE920033
	v_lshrrev_b32_e32 v4, 3, v0                                // 000000002B88: 20080083
	v_lshrrev_b32_e32 v5, 2, v4                                // 000000002B8C: 200A0882
	v_lshlrev_b32_e32 v5, 4, v5                                // 000000002B90: 240A0A84
	v_and_b32_e32 v4, 3, v4                                    // 000000002B94: 26080883
	v_lshrrev_b32_e32 v6, 1, v4                                // 000000002B98: 200C0881
	v_lshlrev_b32_e32 v6, 2, v6                                // 000000002B9C: 240C0C82
	v_add_u32_e32 v5, v5, v6                                   // 000000002BA0: 680A0D05
	v_and_b32_e32 v4, 1, v4                                    // 000000002BA4: 26080881
	v_add_u32_e32 v5, v5, v4                                   // 000000002BA8: 680A0905
	v_mul_lo_u32 v200, s41, v5                                 // 000000002BAC: D28500C8 00020A29
	v_mul_lo_u32 v210, s42, v5                                 // 000000002BB4: D28500D2 00020A2A
	v_and_b32_e32 v4, 7, v0                                    // 000000002BBC: 26080087
	v_lshlrev_b32_e32 v4, 4, v4                                // 000000002BC0: 24080884
	v_add_u32_e32 v200, v200, v4                               // 000000002BC4: 699009C8
	v_add_u32_e32 v210, v210, v4                               // 000000002BC8: 69A409D2
	s_lshr_b32 s51, s48, 1                                     // 000000002BCC: 8F338130
	s_mul_i32 s51, s51, 8                                      // 000000002BD0: 92338833
	s_and_b32 s52, s48, 1                                      // 000000002BD4: 86348130
	s_mul_i32 s52, s52, 2                                      // 000000002BD8: 92348234
	s_add_u32 s51, s51, s52                                    // 000000002BDC: 80333433
	s_mul_i32 s52, s47, 0x100                                  // 000000002BE0: 9234FF2F 00000100
	s_add_u32 s52, s51, s52                                    // 000000002BE8: 80343433
	s_mul_i32 s52, s41, s52                                    // 000000002BEC: 92343429
	v_add_u32_e32 v200, s52, v200                              // 000000002BF0: 69919034
	s_mul_i32 s52, s46, 0x100                                  // 000000002BF4: 9234FF2E 00000100
	s_add_u32 s52, s51, s52                                    // 000000002BFC: 80343433
	s_mul_i32 s52, s42, s52                                    // 000000002C00: 9234342A
	v_add_u32_e32 v210, s52, v210                              // 000000002C04: 69A5A434
	s_mul_i32 s51, s41, 32                                     // 000000002C08: 9233A029
	v_add_u32_e32 v201, s51, v200                              // 000000002C0C: 69939033
	v_add_u32_e32 v202, s51, v201                              // 000000002C10: 69959233
	v_add_u32_e32 v203, s51, v202                              // 000000002C14: 69979433
	v_add_u32_e32 v204, s51, v203                              // 000000002C18: 69999633
	v_add_u32_e32 v205, s51, v204                              // 000000002C1C: 699B9833
	v_add_u32_e32 v206, s51, v205                              // 000000002C20: 699D9A33
	v_add_u32_e32 v207, s51, v206                              // 000000002C24: 699F9C33
	s_mul_i32 s51, s42, 32                                     // 000000002C28: 9233A02A
	v_add_u32_e32 v211, s51, v210                              // 000000002C2C: 69A7A433
	v_add_u32_e32 v212, s51, v211                              // 000000002C30: 69A9A633
	v_add_u32_e32 v213, s51, v212                              // 000000002C34: 69ABA833
	v_add_u32_e32 v214, s51, v213                              // 000000002C38: 69ADAA33
	v_add_u32_e32 v215, s51, v214                              // 000000002C3C: 69AFAC33
	v_add_u32_e32 v216, s51, v215                              // 000000002C40: 69B1AE33
	v_add_u32_e32 v217, s51, v216                              // 000000002C44: 69B3B033
	s_mul_i32 s60, 0x420, s48                                  // 000000002C48: 923C30FF 00000420
	s_add_u32 s60, 0, s60                                      // 000000002C50: 803C3C80
	s_add_u32 s61, 0x10800, s60                                // 000000002C54: 803D3CFF 00010800
	v_and_b32_e32 v4, 15, v0                                   // 000000002C5C: 2608008F
	v_lshrrev_b32_e32 v5, 3, v4                                // 000000002C60: 200A0883
	v_mul_i32_i24_e32 v5, 2, v5                                // 000000002C64: 0C0A0A82
	v_and_b32_e32 v4, 3, v0                                    // 000000002C68: 26080083
	v_lshrrev_b32_e32 v6, 1, v4                                // 000000002C6C: 200C0881
	v_add_u32_e32 v4, v5, v6                                   // 000000002C70: 68080D05
	v_mul_i32_i24_e32 v208, 0x420, v4                          // 000000002C74: 0DA008FF 00000420
	v_mul_i32_i24_e32 v218, 0x420, v4                          // 000000002C7C: 0DB408FF 00000420
	v_and_b32_e32 v4, 7, v0                                    // 000000002C84: 26080087
	v_lshrrev_b32_e32 v5, 2, v4                                // 000000002C88: 200A0882
	v_mul_i32_i24_e32 v5, 0x100, v5                            // 000000002C8C: 0C0A0AFF 00000100
	v_add_u32_e32 v208, v5, v208                               // 000000002C94: 69A1A105
	v_add_u32_e32 v218, v5, v218                               // 000000002C98: 69B5B505
	v_and_b32_e32 v4, 1, v0                                    // 000000002C9C: 26080081
	v_mul_i32_i24_e32 v6, 0x80, v4                             // 000000002CA0: 0C0C08FF 00000080
	v_add_u32_e32 v208, v6, v208                               // 000000002CA8: 69A1A106
	v_add_u32_e32 v218, v6, v218                               // 000000002CAC: 69B5B506
	v_lshrrev_b32_e32 v4, 4, v0                                // 000000002CB0: 20080084
	v_mul_i32_i24_e32 v4, 16, v4                               // 000000002CB4: 0C080890
	v_add_u32_e32 v208, v4, v208                               // 000000002CB8: 69A1A104
	v_add_u32_e32 v218, v4, v218                               // 000000002CBC: 69B5B504
	s_mov_b32 s51, 0                                           // 000000002CC0: BEB30080
	v_add_u32_e64 v208, v208, s51                              // 000000002CC4: D13400D0 000067D0
	s_mov_b32 s51, 0x10800                                     // 000000002CCC: BEB300FF 00010800
	v_add_u32_e64 v218, v218, s51                              // 000000002CD4: D13400DA 000067DA
	s_mul_i32 s51, 0x2100, s48                                 // 000000002CDC: 923330FF 00002100
	v_add_u32_e64 v218, v218, s51                              // 000000002CE4: D13400DA 000067DA
	v_add_u32_e32 v209, 0x8400, v208                           // 000000002CEC: 69A3A0FF 00008400
	v_add_u32_e32 v219, 0x8400, v218                           // 000000002CF4: 69B7B4FF 00008400
	s_mov_b32 s62, 0x80                                        // 000000002CFC: BEBE00FF 00000080
	s_mov_b32 s63, 0x80                                        // 000000002D04: BEBF00FF 00000080
	s_add_u32 m0, 0, s61                                       // 000000002D0C: 807C3D80
	buffer_load_dwordx4 v210, s[16:19], 0 offen lds            // 000000002D10: E05D1000 800400D2
	v_accvgpr_write_b32 a0, 0                                  // 000000002D18: D3D94000 18000080
	v_accvgpr_write_b32 a1, 0                                  // 000000002D20: D3D94001 18000080
	v_accvgpr_write_b32 a2, 0                                  // 000000002D28: D3D94002 18000080
	v_accvgpr_write_b32 a3, 0                                  // 000000002D30: D3D94003 18000080
	v_accvgpr_write_b32 a4, 0                                  // 000000002D38: D3D94004 18000080
	v_accvgpr_write_b32 a5, 0                                  // 000000002D40: D3D94005 18000080
	v_accvgpr_write_b32 a6, 0                                  // 000000002D48: D3D94006 18000080
	v_accvgpr_write_b32 a7, 0                                  // 000000002D50: D3D94007 18000080
	s_add_u32 m0, 0x1080, s61                                  // 000000002D58: 807C3DFF 00001080
	buffer_load_dwordx4 v211, s[16:19], 0 offen lds            // 000000002D60: E05D1000 800400D3
	v_accvgpr_write_b32 a8, 0                                  // 000000002D68: D3D94008 18000080
	v_accvgpr_write_b32 a9, 0                                  // 000000002D70: D3D94009 18000080
	v_accvgpr_write_b32 a10, 0                                 // 000000002D78: D3D9400A 18000080
	v_accvgpr_write_b32 a11, 0                                 // 000000002D80: D3D9400B 18000080
	v_accvgpr_write_b32 a12, 0                                 // 000000002D88: D3D9400C 18000080
	v_accvgpr_write_b32 a13, 0                                 // 000000002D90: D3D9400D 18000080
	v_accvgpr_write_b32 a14, 0                                 // 000000002D98: D3D9400E 18000080
	v_accvgpr_write_b32 a15, 0                                 // 000000002DA0: D3D9400F 18000080
	s_add_u32 m0, 0x2100, s61                                  // 000000002DA8: 807C3DFF 00002100
	buffer_load_dwordx4 v212, s[16:19], 0 offen lds            // 000000002DB0: E05D1000 800400D4
	v_accvgpr_write_b32 a16, 0                                 // 000000002DB8: D3D94010 18000080
	v_accvgpr_write_b32 a17, 0                                 // 000000002DC0: D3D94011 18000080
	v_accvgpr_write_b32 a18, 0                                 // 000000002DC8: D3D94012 18000080
	v_accvgpr_write_b32 a19, 0                                 // 000000002DD0: D3D94013 18000080
	v_accvgpr_write_b32 a20, 0                                 // 000000002DD8: D3D94014 18000080
	v_accvgpr_write_b32 a21, 0                                 // 000000002DE0: D3D94015 18000080
	v_accvgpr_write_b32 a22, 0                                 // 000000002DE8: D3D94016 18000080
	v_accvgpr_write_b32 a23, 0                                 // 000000002DF0: D3D94017 18000080
	s_add_u32 m0, 0x3180, s61                                  // 000000002DF8: 807C3DFF 00003180
	buffer_load_dwordx4 v213, s[16:19], 0 offen lds            // 000000002E00: E05D1000 800400D5
	v_accvgpr_write_b32 a24, 0                                 // 000000002E08: D3D94018 18000080
	v_accvgpr_write_b32 a25, 0                                 // 000000002E10: D3D94019 18000080
	v_accvgpr_write_b32 a26, 0                                 // 000000002E18: D3D9401A 18000080
	v_accvgpr_write_b32 a27, 0                                 // 000000002E20: D3D9401B 18000080
	v_accvgpr_write_b32 a28, 0                                 // 000000002E28: D3D9401C 18000080
	v_accvgpr_write_b32 a29, 0                                 // 000000002E30: D3D9401D 18000080
	v_accvgpr_write_b32 a30, 0                                 // 000000002E38: D3D9401E 18000080
	v_accvgpr_write_b32 a31, 0                                 // 000000002E40: D3D9401F 18000080
	s_add_u32 m0, 0x4200, s61                                  // 000000002E48: 807C3DFF 00004200
	buffer_load_dwordx4 v214, s[16:19], 0 offen lds            // 000000002E50: E05D1000 800400D6
	v_accvgpr_write_b32 a32, 0                                 // 000000002E58: D3D94020 18000080
	v_accvgpr_write_b32 a33, 0                                 // 000000002E60: D3D94021 18000080
	v_accvgpr_write_b32 a34, 0                                 // 000000002E68: D3D94022 18000080
	v_accvgpr_write_b32 a35, 0                                 // 000000002E70: D3D94023 18000080
	v_accvgpr_write_b32 a36, 0                                 // 000000002E78: D3D94024 18000080
	v_accvgpr_write_b32 a37, 0                                 // 000000002E80: D3D94025 18000080
	v_accvgpr_write_b32 a38, 0                                 // 000000002E88: D3D94026 18000080
	v_accvgpr_write_b32 a39, 0                                 // 000000002E90: D3D94027 18000080
	s_add_u32 m0, 0x5280, s61                                  // 000000002E98: 807C3DFF 00005280
	buffer_load_dwordx4 v215, s[16:19], 0 offen lds            // 000000002EA0: E05D1000 800400D7
	v_accvgpr_write_b32 a40, 0                                 // 000000002EA8: D3D94028 18000080
	v_accvgpr_write_b32 a41, 0                                 // 000000002EB0: D3D94029 18000080
	v_accvgpr_write_b32 a42, 0                                 // 000000002EB8: D3D9402A 18000080
	v_accvgpr_write_b32 a43, 0                                 // 000000002EC0: D3D9402B 18000080
	v_accvgpr_write_b32 a44, 0                                 // 000000002EC8: D3D9402C 18000080
	v_accvgpr_write_b32 a45, 0                                 // 000000002ED0: D3D9402D 18000080
	v_accvgpr_write_b32 a46, 0                                 // 000000002ED8: D3D9402E 18000080
	v_accvgpr_write_b32 a47, 0                                 // 000000002EE0: D3D9402F 18000080
	s_add_u32 m0, 0x6300, s61                                  // 000000002EE8: 807C3DFF 00006300
	buffer_load_dwordx4 v216, s[16:19], 0 offen lds            // 000000002EF0: E05D1000 800400D8
	v_accvgpr_write_b32 a48, 0                                 // 000000002EF8: D3D94030 18000080
	v_accvgpr_write_b32 a49, 0                                 // 000000002F00: D3D94031 18000080
	v_accvgpr_write_b32 a50, 0                                 // 000000002F08: D3D94032 18000080
	v_accvgpr_write_b32 a51, 0                                 // 000000002F10: D3D94033 18000080
	v_accvgpr_write_b32 a52, 0                                 // 000000002F18: D3D94034 18000080
	v_accvgpr_write_b32 a53, 0                                 // 000000002F20: D3D94035 18000080
	v_accvgpr_write_b32 a54, 0                                 // 000000002F28: D3D94036 18000080
	v_accvgpr_write_b32 a55, 0                                 // 000000002F30: D3D94037 18000080
	s_add_u32 m0, 0x7380, s61                                  // 000000002F38: 807C3DFF 00007380
	buffer_load_dwordx4 v217, s[16:19], 0 offen lds            // 000000002F40: E05D1000 800400D9
	v_accvgpr_write_b32 a56, 0                                 // 000000002F48: D3D94038 18000080
	v_accvgpr_write_b32 a57, 0                                 // 000000002F50: D3D94039 18000080
	v_accvgpr_write_b32 a58, 0                                 // 000000002F58: D3D9403A 18000080
	v_accvgpr_write_b32 a59, 0                                 // 000000002F60: D3D9403B 18000080
	v_accvgpr_write_b32 a60, 0                                 // 000000002F68: D3D9403C 18000080
	v_accvgpr_write_b32 a61, 0                                 // 000000002F70: D3D9403D 18000080
	v_accvgpr_write_b32 a62, 0                                 // 000000002F78: D3D9403E 18000080
	v_accvgpr_write_b32 a63, 0                                 // 000000002F80: D3D9403F 18000080
	s_add_u32 s16, s63, s16                                    // 000000002F88: 8010103F
	s_addc_u32 s17, 0, s17                                     // 000000002F8C: 82111180
	s_sub_u32 s18, s18, s63                                    // 000000002F90: 80923F12
	v_accvgpr_write_b32 a64, 0                                 // 000000002F94: D3D94040 18000080
	v_accvgpr_write_b32 a65, 0                                 // 000000002F9C: D3D94041 18000080
	v_accvgpr_write_b32 a66, 0                                 // 000000002FA4: D3D94042 18000080
	v_accvgpr_write_b32 a67, 0                                 // 000000002FAC: D3D94043 18000080
	v_accvgpr_write_b32 a68, 0                                 // 000000002FB4: D3D94044 18000080
	v_accvgpr_write_b32 a69, 0                                 // 000000002FBC: D3D94045 18000080
	v_accvgpr_write_b32 a70, 0                                 // 000000002FC4: D3D94046 18000080
	v_accvgpr_write_b32 a71, 0                                 // 000000002FCC: D3D94047 18000080
	s_add_u32 m0, 0, s60                                       // 000000002FD4: 807C3C80
	buffer_load_dwordx4 v200, s[12:15], 0 offen lds            // 000000002FD8: E05D1000 800300C8
	v_accvgpr_write_b32 a72, 0                                 // 000000002FE0: D3D94048 18000080
	v_accvgpr_write_b32 a73, 0                                 // 000000002FE8: D3D94049 18000080
	v_accvgpr_write_b32 a74, 0                                 // 000000002FF0: D3D9404A 18000080
	v_accvgpr_write_b32 a75, 0                                 // 000000002FF8: D3D9404B 18000080
	v_accvgpr_write_b32 a76, 0                                 // 000000003000: D3D9404C 18000080
	v_accvgpr_write_b32 a77, 0                                 // 000000003008: D3D9404D 18000080
	v_accvgpr_write_b32 a78, 0                                 // 000000003010: D3D9404E 18000080
	v_accvgpr_write_b32 a79, 0                                 // 000000003018: D3D9404F 18000080
	s_add_u32 m0, 0x1080, s60                                  // 000000003020: 807C3CFF 00001080
	buffer_load_dwordx4 v201, s[12:15], 0 offen lds            // 000000003028: E05D1000 800300C9
	v_accvgpr_write_b32 a80, 0                                 // 000000003030: D3D94050 18000080
	v_accvgpr_write_b32 a81, 0                                 // 000000003038: D3D94051 18000080
	v_accvgpr_write_b32 a82, 0                                 // 000000003040: D3D94052 18000080
	v_accvgpr_write_b32 a83, 0                                 // 000000003048: D3D94053 18000080
	v_accvgpr_write_b32 a84, 0                                 // 000000003050: D3D94054 18000080
	v_accvgpr_write_b32 a85, 0                                 // 000000003058: D3D94055 18000080
	v_accvgpr_write_b32 a86, 0                                 // 000000003060: D3D94056 18000080
	v_accvgpr_write_b32 a87, 0                                 // 000000003068: D3D94057 18000080
	s_add_u32 m0, 0x2100, s60                                  // 000000003070: 807C3CFF 00002100
	buffer_load_dwordx4 v202, s[12:15], 0 offen lds            // 000000003078: E05D1000 800300CA
	v_accvgpr_write_b32 a88, 0                                 // 000000003080: D3D94058 18000080
	v_accvgpr_write_b32 a89, 0                                 // 000000003088: D3D94059 18000080
	v_accvgpr_write_b32 a90, 0                                 // 000000003090: D3D9405A 18000080
	v_accvgpr_write_b32 a91, 0                                 // 000000003098: D3D9405B 18000080
	v_accvgpr_write_b32 a92, 0                                 // 0000000030A0: D3D9405C 18000080
	v_accvgpr_write_b32 a93, 0                                 // 0000000030A8: D3D9405D 18000080
	v_accvgpr_write_b32 a94, 0                                 // 0000000030B0: D3D9405E 18000080
	v_accvgpr_write_b32 a95, 0                                 // 0000000030B8: D3D9405F 18000080
	s_add_u32 m0, 0x3180, s60                                  // 0000000030C0: 807C3CFF 00003180
	buffer_load_dwordx4 v203, s[12:15], 0 offen lds            // 0000000030C8: E05D1000 800300CB
	v_accvgpr_write_b32 a96, 0                                 // 0000000030D0: D3D94060 18000080
	v_accvgpr_write_b32 a97, 0                                 // 0000000030D8: D3D94061 18000080
	v_accvgpr_write_b32 a98, 0                                 // 0000000030E0: D3D94062 18000080
	v_accvgpr_write_b32 a99, 0                                 // 0000000030E8: D3D94063 18000080
	v_accvgpr_write_b32 a100, 0                                // 0000000030F0: D3D94064 18000080
	v_accvgpr_write_b32 a101, 0                                // 0000000030F8: D3D94065 18000080
	v_accvgpr_write_b32 a102, 0                                // 000000003100: D3D94066 18000080
	v_accvgpr_write_b32 a103, 0                                // 000000003108: D3D94067 18000080
	s_add_u32 m0, 0x4200, s60                                  // 000000003110: 807C3CFF 00004200
	buffer_load_dwordx4 v204, s[12:15], 0 offen lds            // 000000003118: E05D1000 800300CC
	v_accvgpr_write_b32 a104, 0                                // 000000003120: D3D94068 18000080
	v_accvgpr_write_b32 a105, 0                                // 000000003128: D3D94069 18000080
	v_accvgpr_write_b32 a106, 0                                // 000000003130: D3D9406A 18000080
	v_accvgpr_write_b32 a107, 0                                // 000000003138: D3D9406B 18000080
	v_accvgpr_write_b32 a108, 0                                // 000000003140: D3D9406C 18000080
	v_accvgpr_write_b32 a109, 0                                // 000000003148: D3D9406D 18000080
	v_accvgpr_write_b32 a110, 0                                // 000000003150: D3D9406E 18000080
	v_accvgpr_write_b32 a111, 0                                // 000000003158: D3D9406F 18000080
	s_add_u32 m0, 0x5280, s60                                  // 000000003160: 807C3CFF 00005280
	buffer_load_dwordx4 v205, s[12:15], 0 offen lds            // 000000003168: E05D1000 800300CD
	v_accvgpr_write_b32 a112, 0                                // 000000003170: D3D94070 18000080
	v_accvgpr_write_b32 a113, 0                                // 000000003178: D3D94071 18000080
	v_accvgpr_write_b32 a114, 0                                // 000000003180: D3D94072 18000080
	v_accvgpr_write_b32 a115, 0                                // 000000003188: D3D94073 18000080
	v_accvgpr_write_b32 a116, 0                                // 000000003190: D3D94074 18000080
	v_accvgpr_write_b32 a117, 0                                // 000000003198: D3D94075 18000080
	v_accvgpr_write_b32 a118, 0                                // 0000000031A0: D3D94076 18000080
	v_accvgpr_write_b32 a119, 0                                // 0000000031A8: D3D94077 18000080
	s_add_u32 m0, 0x6300, s60                                  // 0000000031B0: 807C3CFF 00006300
	buffer_load_dwordx4 v206, s[12:15], 0 offen lds            // 0000000031B8: E05D1000 800300CE
	v_accvgpr_write_b32 a120, 0                                // 0000000031C0: D3D94078 18000080
	v_accvgpr_write_b32 a121, 0                                // 0000000031C8: D3D94079 18000080
	v_accvgpr_write_b32 a122, 0                                // 0000000031D0: D3D9407A 18000080
	v_accvgpr_write_b32 a123, 0                                // 0000000031D8: D3D9407B 18000080
	v_accvgpr_write_b32 a124, 0                                // 0000000031E0: D3D9407C 18000080
	v_accvgpr_write_b32 a125, 0                                // 0000000031E8: D3D9407D 18000080
	v_accvgpr_write_b32 a126, 0                                // 0000000031F0: D3D9407E 18000080
	v_accvgpr_write_b32 a127, 0                                // 0000000031F8: D3D9407F 18000080
	s_add_u32 m0, 0x7380, s60                                  // 000000003200: 807C3CFF 00007380
	buffer_load_dwordx4 v207, s[12:15], 0 offen lds            // 000000003208: E05D1000 800300CF
	v_accvgpr_write_b32 a128, 0                                // 000000003210: D3D94080 18000080
	v_accvgpr_write_b32 a129, 0                                // 000000003218: D3D94081 18000080
	v_accvgpr_write_b32 a130, 0                                // 000000003220: D3D94082 18000080
	v_accvgpr_write_b32 a131, 0                                // 000000003228: D3D94083 18000080
	v_accvgpr_write_b32 a132, 0                                // 000000003230: D3D94084 18000080
	v_accvgpr_write_b32 a133, 0                                // 000000003238: D3D94085 18000080
	v_accvgpr_write_b32 a134, 0                                // 000000003240: D3D94086 18000080
	v_accvgpr_write_b32 a135, 0                                // 000000003248: D3D94087 18000080
	s_add_u32 s12, s62, s12                                    // 000000003250: 800C0C3E
	s_addc_u32 s13, 0, s13                                     // 000000003254: 820D0D80
	s_sub_u32 s14, s14, s62                                    // 000000003258: 808E3E0E
	s_add_u32 m0, 0x8400, s61                                  // 00000000325C: 807C3DFF 00008400
	buffer_load_dwordx4 v210, s[16:19], 0 offen lds            // 000000003264: E05D1000 800400D2
	v_accvgpr_write_b32 a136, 0                                // 00000000326C: D3D94088 18000080
	v_accvgpr_write_b32 a137, 0                                // 000000003274: D3D94089 18000080
	v_accvgpr_write_b32 a138, 0                                // 00000000327C: D3D9408A 18000080
	v_accvgpr_write_b32 a139, 0                                // 000000003284: D3D9408B 18000080
	v_accvgpr_write_b32 a140, 0                                // 00000000328C: D3D9408C 18000080
	v_accvgpr_write_b32 a141, 0                                // 000000003294: D3D9408D 18000080
	v_accvgpr_write_b32 a142, 0                                // 00000000329C: D3D9408E 18000080
	v_accvgpr_write_b32 a143, 0                                // 0000000032A4: D3D9408F 18000080
	s_add_u32 m0, 0x9480, s61                                  // 0000000032AC: 807C3DFF 00009480
	buffer_load_dwordx4 v211, s[16:19], 0 offen lds            // 0000000032B4: E05D1000 800400D3
	v_accvgpr_write_b32 a144, 0                                // 0000000032BC: D3D94090 18000080
	v_accvgpr_write_b32 a145, 0                                // 0000000032C4: D3D94091 18000080
	v_accvgpr_write_b32 a146, 0                                // 0000000032CC: D3D94092 18000080
	v_accvgpr_write_b32 a147, 0                                // 0000000032D4: D3D94093 18000080
	v_accvgpr_write_b32 a148, 0                                // 0000000032DC: D3D94094 18000080
	v_accvgpr_write_b32 a149, 0                                // 0000000032E4: D3D94095 18000080
	v_accvgpr_write_b32 a150, 0                                // 0000000032EC: D3D94096 18000080
	v_accvgpr_write_b32 a151, 0                                // 0000000032F4: D3D94097 18000080
	s_add_u32 m0, 0xa500, s61                                  // 0000000032FC: 807C3DFF 0000A500
	buffer_load_dwordx4 v212, s[16:19], 0 offen lds            // 000000003304: E05D1000 800400D4
	v_accvgpr_write_b32 a152, 0                                // 00000000330C: D3D94098 18000080
	v_accvgpr_write_b32 a153, 0                                // 000000003314: D3D94099 18000080
	v_accvgpr_write_b32 a154, 0                                // 00000000331C: D3D9409A 18000080
	v_accvgpr_write_b32 a155, 0                                // 000000003324: D3D9409B 18000080
	v_accvgpr_write_b32 a156, 0                                // 00000000332C: D3D9409C 18000080
	v_accvgpr_write_b32 a157, 0                                // 000000003334: D3D9409D 18000080
	v_accvgpr_write_b32 a158, 0                                // 00000000333C: D3D9409E 18000080
	v_accvgpr_write_b32 a159, 0                                // 000000003344: D3D9409F 18000080
	s_add_u32 m0, 0xb580, s61                                  // 00000000334C: 807C3DFF 0000B580
	buffer_load_dwordx4 v213, s[16:19], 0 offen lds            // 000000003354: E05D1000 800400D5
	v_accvgpr_write_b32 a160, 0                                // 00000000335C: D3D940A0 18000080
	v_accvgpr_write_b32 a161, 0                                // 000000003364: D3D940A1 18000080
	v_accvgpr_write_b32 a162, 0                                // 00000000336C: D3D940A2 18000080
	v_accvgpr_write_b32 a163, 0                                // 000000003374: D3D940A3 18000080
	v_accvgpr_write_b32 a164, 0                                // 00000000337C: D3D940A4 18000080
	v_accvgpr_write_b32 a165, 0                                // 000000003384: D3D940A5 18000080
	v_accvgpr_write_b32 a166, 0                                // 00000000338C: D3D940A6 18000080
	v_accvgpr_write_b32 a167, 0                                // 000000003394: D3D940A7 18000080
	s_add_u32 m0, 0xc600, s61                                  // 00000000339C: 807C3DFF 0000C600
	buffer_load_dwordx4 v214, s[16:19], 0 offen lds            // 0000000033A4: E05D1000 800400D6
	v_accvgpr_write_b32 a168, 0                                // 0000000033AC: D3D940A8 18000080
	v_accvgpr_write_b32 a169, 0                                // 0000000033B4: D3D940A9 18000080
	v_accvgpr_write_b32 a170, 0                                // 0000000033BC: D3D940AA 18000080
	v_accvgpr_write_b32 a171, 0                                // 0000000033C4: D3D940AB 18000080
	v_accvgpr_write_b32 a172, 0                                // 0000000033CC: D3D940AC 18000080
	v_accvgpr_write_b32 a173, 0                                // 0000000033D4: D3D940AD 18000080
	v_accvgpr_write_b32 a174, 0                                // 0000000033DC: D3D940AE 18000080
	v_accvgpr_write_b32 a175, 0                                // 0000000033E4: D3D940AF 18000080
	s_add_u32 m0, 0xd680, s61                                  // 0000000033EC: 807C3DFF 0000D680
	buffer_load_dwordx4 v215, s[16:19], 0 offen lds            // 0000000033F4: E05D1000 800400D7
	v_accvgpr_write_b32 a176, 0                                // 0000000033FC: D3D940B0 18000080
	v_accvgpr_write_b32 a177, 0                                // 000000003404: D3D940B1 18000080
	v_accvgpr_write_b32 a178, 0                                // 00000000340C: D3D940B2 18000080
	v_accvgpr_write_b32 a179, 0                                // 000000003414: D3D940B3 18000080
	v_accvgpr_write_b32 a180, 0                                // 00000000341C: D3D940B4 18000080
	v_accvgpr_write_b32 a181, 0                                // 000000003424: D3D940B5 18000080
	v_accvgpr_write_b32 a182, 0                                // 00000000342C: D3D940B6 18000080
	v_accvgpr_write_b32 a183, 0                                // 000000003434: D3D940B7 18000080
	s_add_u32 m0, 0xe700, s61                                  // 00000000343C: 807C3DFF 0000E700
	buffer_load_dwordx4 v216, s[16:19], 0 offen lds            // 000000003444: E05D1000 800400D8
	v_accvgpr_write_b32 a184, 0                                // 00000000344C: D3D940B8 18000080
	v_accvgpr_write_b32 a185, 0                                // 000000003454: D3D940B9 18000080
	v_accvgpr_write_b32 a186, 0                                // 00000000345C: D3D940BA 18000080
	v_accvgpr_write_b32 a187, 0                                // 000000003464: D3D940BB 18000080
	v_accvgpr_write_b32 a188, 0                                // 00000000346C: D3D940BC 18000080
	v_accvgpr_write_b32 a189, 0                                // 000000003474: D3D940BD 18000080
	v_accvgpr_write_b32 a190, 0                                // 00000000347C: D3D940BE 18000080
	v_accvgpr_write_b32 a191, 0                                // 000000003484: D3D940BF 18000080
	s_add_u32 m0, 0xf780, s61                                  // 00000000348C: 807C3DFF 0000F780
	buffer_load_dwordx4 v217, s[16:19], 0 offen lds            // 000000003494: E05D1000 800400D9
	v_accvgpr_write_b32 a192, 0                                // 00000000349C: D3D940C0 18000080
	v_accvgpr_write_b32 a193, 0                                // 0000000034A4: D3D940C1 18000080
	v_accvgpr_write_b32 a194, 0                                // 0000000034AC: D3D940C2 18000080
	v_accvgpr_write_b32 a195, 0                                // 0000000034B4: D3D940C3 18000080
	v_accvgpr_write_b32 a196, 0                                // 0000000034BC: D3D940C4 18000080
	v_accvgpr_write_b32 a197, 0                                // 0000000034C4: D3D940C5 18000080
	v_accvgpr_write_b32 a198, 0                                // 0000000034CC: D3D940C6 18000080
	v_accvgpr_write_b32 a199, 0                                // 0000000034D4: D3D940C7 18000080
	s_add_u32 s16, s63, s16                                    // 0000000034DC: 8010103F
	s_addc_u32 s17, 0, s17                                     // 0000000034E0: 82111180
	s_sub_u32 s18, s18, s63                                    // 0000000034E4: 80923F12
	v_accvgpr_write_b32 a200, 0                                // 0000000034E8: D3D940C8 18000080
	v_accvgpr_write_b32 a201, 0                                // 0000000034F0: D3D940C9 18000080
	v_accvgpr_write_b32 a202, 0                                // 0000000034F8: D3D940CA 18000080
	v_accvgpr_write_b32 a203, 0                                // 000000003500: D3D940CB 18000080
	v_accvgpr_write_b32 a204, 0                                // 000000003508: D3D940CC 18000080
	v_accvgpr_write_b32 a205, 0                                // 000000003510: D3D940CD 18000080
	v_accvgpr_write_b32 a206, 0                                // 000000003518: D3D940CE 18000080
	v_accvgpr_write_b32 a207, 0                                // 000000003520: D3D940CF 18000080
	s_add_u32 m0, 0x8400, s60                                  // 000000003528: 807C3CFF 00008400
	buffer_load_dwordx4 v200, s[12:15], 0 offen lds            // 000000003530: E05D1000 800300C8
	v_accvgpr_write_b32 a208, 0                                // 000000003538: D3D940D0 18000080
	v_accvgpr_write_b32 a209, 0                                // 000000003540: D3D940D1 18000080
	v_accvgpr_write_b32 a210, 0                                // 000000003548: D3D940D2 18000080
	v_accvgpr_write_b32 a211, 0                                // 000000003550: D3D940D3 18000080
	v_accvgpr_write_b32 a212, 0                                // 000000003558: D3D940D4 18000080
	v_accvgpr_write_b32 a213, 0                                // 000000003560: D3D940D5 18000080
	v_accvgpr_write_b32 a214, 0                                // 000000003568: D3D940D6 18000080
	v_accvgpr_write_b32 a215, 0                                // 000000003570: D3D940D7 18000080
	s_add_u32 m0, 0x9480, s60                                  // 000000003578: 807C3CFF 00009480
	buffer_load_dwordx4 v201, s[12:15], 0 offen lds            // 000000003580: E05D1000 800300C9
	v_accvgpr_write_b32 a216, 0                                // 000000003588: D3D940D8 18000080
	v_accvgpr_write_b32 a217, 0                                // 000000003590: D3D940D9 18000080
	v_accvgpr_write_b32 a218, 0                                // 000000003598: D3D940DA 18000080
	v_accvgpr_write_b32 a219, 0                                // 0000000035A0: D3D940DB 18000080
	v_accvgpr_write_b32 a220, 0                                // 0000000035A8: D3D940DC 18000080
	v_accvgpr_write_b32 a221, 0                                // 0000000035B0: D3D940DD 18000080
	v_accvgpr_write_b32 a222, 0                                // 0000000035B8: D3D940DE 18000080
	v_accvgpr_write_b32 a223, 0                                // 0000000035C0: D3D940DF 18000080
	s_add_u32 m0, 0xa500, s60                                  // 0000000035C8: 807C3CFF 0000A500
	buffer_load_dwordx4 v202, s[12:15], 0 offen lds            // 0000000035D0: E05D1000 800300CA
	v_accvgpr_write_b32 a224, 0                                // 0000000035D8: D3D940E0 18000080
	v_accvgpr_write_b32 a225, 0                                // 0000000035E0: D3D940E1 18000080
	v_accvgpr_write_b32 a226, 0                                // 0000000035E8: D3D940E2 18000080
	v_accvgpr_write_b32 a227, 0                                // 0000000035F0: D3D940E3 18000080
	v_accvgpr_write_b32 a228, 0                                // 0000000035F8: D3D940E4 18000080
	v_accvgpr_write_b32 a229, 0                                // 000000003600: D3D940E5 18000080
	v_accvgpr_write_b32 a230, 0                                // 000000003608: D3D940E6 18000080
	v_accvgpr_write_b32 a231, 0                                // 000000003610: D3D940E7 18000080
	s_add_u32 m0, 0xb580, s60                                  // 000000003618: 807C3CFF 0000B580
	buffer_load_dwordx4 v203, s[12:15], 0 offen lds            // 000000003620: E05D1000 800300CB
	v_accvgpr_write_b32 a232, 0                                // 000000003628: D3D940E8 18000080
	v_accvgpr_write_b32 a233, 0                                // 000000003630: D3D940E9 18000080
	v_accvgpr_write_b32 a234, 0                                // 000000003638: D3D940EA 18000080
	v_accvgpr_write_b32 a235, 0                                // 000000003640: D3D940EB 18000080
	v_accvgpr_write_b32 a236, 0                                // 000000003648: D3D940EC 18000080
	v_accvgpr_write_b32 a237, 0                                // 000000003650: D3D940ED 18000080
	v_accvgpr_write_b32 a238, 0                                // 000000003658: D3D940EE 18000080
	v_accvgpr_write_b32 a239, 0                                // 000000003660: D3D940EF 18000080
	s_add_u32 m0, 0xc600, s60                                  // 000000003668: 807C3CFF 0000C600
	buffer_load_dwordx4 v204, s[12:15], 0 offen lds            // 000000003670: E05D1000 800300CC
	v_accvgpr_write_b32 a240, 0                                // 000000003678: D3D940F0 18000080
	v_accvgpr_write_b32 a241, 0                                // 000000003680: D3D940F1 18000080
	v_accvgpr_write_b32 a242, 0                                // 000000003688: D3D940F2 18000080
	v_accvgpr_write_b32 a243, 0                                // 000000003690: D3D940F3 18000080
	v_accvgpr_write_b32 a244, 0                                // 000000003698: D3D940F4 18000080
	v_accvgpr_write_b32 a245, 0                                // 0000000036A0: D3D940F5 18000080
	v_accvgpr_write_b32 a246, 0                                // 0000000036A8: D3D940F6 18000080
	v_accvgpr_write_b32 a247, 0                                // 0000000036B0: D3D940F7 18000080
	s_add_u32 m0, 0xd680, s60                                  // 0000000036B8: 807C3CFF 0000D680
	buffer_load_dwordx4 v205, s[12:15], 0 offen lds            // 0000000036C0: E05D1000 800300CD
	v_accvgpr_write_b32 a248, 0                                // 0000000036C8: D3D940F8 18000080
	v_accvgpr_write_b32 a249, 0                                // 0000000036D0: D3D940F9 18000080
	v_accvgpr_write_b32 a250, 0                                // 0000000036D8: D3D940FA 18000080
	v_accvgpr_write_b32 a251, 0                                // 0000000036E0: D3D940FB 18000080
	v_accvgpr_write_b32 a252, 0                                // 0000000036E8: D3D940FC 18000080
	v_accvgpr_write_b32 a253, 0                                // 0000000036F0: D3D940FD 18000080
	v_accvgpr_write_b32 a254, 0                                // 0000000036F8: D3D940FE 18000080
	v_accvgpr_write_b32 a255, 0                                // 000000003700: D3D940FF 18000080
	s_add_u32 m0, 0xe700, s60                                  // 000000003708: 807C3CFF 0000E700
	buffer_load_dwordx4 v206, s[12:15], 0 offen lds            // 000000003710: E05D1000 800300CE
	s_add_u32 m0, 0xf780, s60                                  // 000000003718: 807C3CFF 0000F780
	buffer_load_dwordx4 v207, s[12:15], 0 offen lds            // 000000003720: E05D1000 800300CF
	s_add_u32 s12, s62, s12                                    // 000000003728: 800C0C3E
	s_addc_u32 s13, 0, s13                                     // 00000000372C: 820D0D80
	s_sub_u32 s14, s14, s62                                    // 000000003730: 808E3E0E
	s_waitcnt vmcnt(20)                                        // 000000003734: BF8C4F74
	s_barrier                                                  // 000000003738: BF8A0000
	ds_read_b128 v[136:139], v218                              // 00000000373C: D9FE0000 880000DA
	ds_read_b128 v[152:155], v218 offset:64                    // 000000003744: D9FE0040 980000DA
	ds_read_b128 v[140:143], v218 offset:512                   // 00000000374C: D9FE0200 8C0000DA
	ds_read_b128 v[156:159], v218 offset:576                   // 000000003754: D9FE0240 9C0000DA
	ds_read_b128 v[144:147], v218 offset:4224                  // 00000000375C: D9FE1080 900000DA
	ds_read_b128 v[160:163], v218 offset:4288                  // 000000003764: D9FE10C0 A00000DA
	ds_read_b128 v[148:151], v218 offset:4736                  // 00000000376C: D9FE1280 940000DA
	ds_read_b128 v[164:167], v218 offset:4800                  // 000000003774: D9FE12C0 A40000DA
	ds_read_b128 v[8:11], v208                                 // 00000000377C: D9FE0000 080000D0
	ds_read_b128 v[40:43], v208 offset:64                      // 000000003784: D9FE0040 280000D0
	ds_read_b128 v[12:15], v208 offset:512                     // 00000000378C: D9FE0200 0C0000D0
	ds_read_b128 v[44:47], v208 offset:576                     // 000000003794: D9FE0240 2C0000D0
	ds_read_b128 v[16:19], v208 offset:4224                    // 00000000379C: D9FE1080 100000D0
	ds_read_b128 v[48:51], v208 offset:4288                    // 0000000037A4: D9FE10C0 300000D0
	ds_read_b128 v[20:23], v208 offset:4736                    // 0000000037AC: D9FE1280 140000D0
	ds_read_b128 v[52:55], v208 offset:4800                    // 0000000037B4: D9FE12C0 340000D0
	ds_read_b128 v[24:27], v208 offset:8448                    // 0000000037BC: D9FE2100 180000D0
	ds_read_b128 v[56:59], v208 offset:8512                    // 0000000037C4: D9FE2140 380000D0
	ds_read_b128 v[28:31], v208 offset:8960                    // 0000000037CC: D9FE2300 1C0000D0
	ds_read_b128 v[60:63], v208 offset:9024                    // 0000000037D4: D9FE2340 3C0000D0
	ds_read_b128 v[32:35], v208 offset:12672                   // 0000000037DC: D9FE3180 200000D0
	ds_read_b128 v[64:67], v208 offset:12736                   // 0000000037E4: D9FE31C0 400000D0
	ds_read_b128 v[36:39], v208 offset:13184                   // 0000000037EC: D9FE3380 240000D0
	ds_read_b128 v[68:71], v208 offset:13248                   // 0000000037F4: D9FE33C0 440000D0
	s_nop 0                                                    // 0000000037FC: BF800000
	s_nop 0                                                    // 000000003800: BF800000
	s_nop 0                                                    // 000000003804: BF800000
	;; [unrolled: 1-line block ×3, first 2 shown]
	s_nop 0                                                    // 00000000380C: BF800000
	s_nop 0                                                    // 000000003810: BF800000
	s_nop 0                                                    // 000000003814: BF800000
	;; [unrolled: 1-line block ×3, first 2 shown]
	s_nop 0                                                    // 00000000381C: BF800000
	s_nop 0                                                    // 000000003820: BF800000
	s_nop 0                                                    // 000000003824: BF800000
	s_cmp_lt_u32 s59, 1                                        // 000000003828: BF0A813B
	s_cbranch_scc0 label_0407                                  // 00000000382C: BF84003B
	s_mul_i32 s51, s47, 0x100                                  // 000000003830: 9233FF2F 00000100
	s_mul_hi_u32 s52, s51, s40                                 // 000000003838: 96342833
	s_add_u32 s5, s5, s52                                      // 00000000383C: 80053405
	s_mul_i32 s52, s51, s40                                    // 000000003840: 92342833
	s_add_u32 s4, s4, s52                                      // 000000003844: 80043404
	s_addc_u32 s5, 0, s5                                       // 000000003848: 82050580
	s_sub_i32 s52, s43, s51                                    // 00000000384C: 81B4332B
	s_cmp_lt_u32 s52, 0x100                                    // 000000003850: BF0AFF34 00000100
	s_cselect_b32 s51, s52, 0x100                              // 000000003858: 8533FF34 00000100
	s_mul_i32 s51, s51, s40                                    // 000000003860: 92332833
	s_mov_b32 s6, s51                                          // 000000003864: BE860033
	v_and_b32_e64 v220, v0, 15                                 // 000000003868: D11300DC 00011F00
	v_mul_lo_u32 v220, v220, s40                               // 000000003870: D28500DC 000051DC
	v_lshrrev_b32_e32 v4, 4, v0                                // 000000003878: 20080084
	v_mul_i32_i24_e32 v4, 16, v4                               // 00000000387C: 0C080890
	v_add_u32_e32 v220, v4, v220                               // 000000003880: 69B9B904
	s_mul_i32 s51, s46, 0x100                                  // 000000003884: 9233FF2E 00000100
	s_mul_i32 s52, s48, 64                                     // 00000000388C: 9234C030
	s_add_i32 s51, s51, s52                                    // 000000003890: 81333433
	s_lshl_b32 s51, s51, 2                                     // 000000003894: 8E338233
	v_add_u32_e32 v220, s51, v220                              // 000000003898: 69B9B833
	s_mul_i32 s52, s40, 16                                     // 00000000389C: 92349028
	v_add_u32_e64 v221, v220, s52                              // 0000000038A0: D13400DD 000069DC
	v_add_u32_e64 v222, v221, s52                              // 0000000038A8: D13400DE 000069DD
	v_add_u32_e64 v223, v222, s52                              // 0000000038B0: D13400DF 000069DE
	v_add_u32_e64 v224, v223, s52                              // 0000000038B8: D13400E0 000069DF
	v_add_u32_e64 v225, v224, s52                              // 0000000038C0: D13400E1 000069E0
	v_add_u32_e64 v226, v225, s52                              // 0000000038C8: D13400E2 000069E1
	v_add_u32_e64 v227, v226, s52                              // 0000000038D0: D13400E3 000069E2
	v_add_u32_e64 v228, v227, s52                              // 0000000038D8: D13400E4 000069E3
	v_add_u32_e64 v229, v228, s52                              // 0000000038E0: D13400E5 000069E4
	v_add_u32_e64 v230, v229, s52                              // 0000000038E8: D13400E6 000069E5
	v_add_u32_e64 v231, v230, s52                              // 0000000038F0: D13400E7 000069E6
	v_add_u32_e64 v232, v231, s52                              // 0000000038F8: D13400E8 000069E7
	v_add_u32_e64 v233, v232, s52                              // 000000003900: D13400E9 000069E8
	v_add_u32_e64 v234, v233, s52                              // 000000003908: D13400EA 000069E9
	v_add_u32_e64 v235, v234, s52                              // 000000003910: D13400EB 000069EA
	s_branch label_0441                                        // 000000003918: BF82003A

000000000000391c <label_0407>:
	s_mul_i32 s51, s47, 0x100                                  // 00000000391C: 9233FF2F 00000100
	s_mul_hi_u32 s52, s51, s40                                 // 000000003924: 96342833
	s_add_u32 s5, s5, s52                                      // 000000003928: 80053405
	s_mul_i32 s52, s51, s40                                    // 00000000392C: 92342833
	s_add_u32 s4, s4, s52                                      // 000000003930: 80043404
	s_addc_u32 s5, 0, s5                                       // 000000003934: 82050580
	s_sub_i32 s51, s43, s51                                    // 000000003938: 81B3332B
	s_mul_i32 s51, s51, s40                                    // 00000000393C: 92332833
	s_mov_b32 s6, s51                                          // 000000003940: BE860033
	v_and_b32_e64 v220, v0, 15                                 // 000000003944: D11300DC 00011F00
	v_mul_lo_u32 v220, v220, s40                               // 00000000394C: D28500DC 000051DC
	v_lshrrev_b32_e32 v4, 5, v0                                // 000000003954: 20080085
	v_mul_i32_i24_e32 v4, 16, v4                               // 000000003958: 0C080890
	v_add_u32_e32 v220, v4, v220                               // 00000000395C: 69B9B904
	v_lshrrev_b32_e32 v4, 4, v0                                // 000000003960: 20080084
	v_and_b32_e32 v4, 1, v4                                    // 000000003964: 26080881
	v_mul_i32_i24_e32 v4, 32, v4                               // 000000003968: 0C0808A0
	v_add_u32_e32 v220, v4, v220                               // 00000000396C: 69B9B904
	s_mul_i32 s51, s46, 0x100                                  // 000000003970: 9233FF2E 00000100
	s_mul_i32 s52, s48, 64                                     // 000000003978: 9234C030
	s_add_i32 s51, s51, s52                                    // 00000000397C: 81333433
	s_lshl_b32 s51, s51, 1                                     // 000000003980: 8E338133
	v_add_u32_e32 v220, s51, v220                              // 000000003984: 69B9B833
	s_mul_i32 s52, s40, 16                                     // 000000003988: 92349028
	v_add_u32_e64 v221, v220, s52                              // 00000000398C: D13400DD 000069DC
	v_add_u32_e64 v222, v221, s52                              // 000000003994: D13400DE 000069DD
	v_add_u32_e64 v223, v222, s52                              // 00000000399C: D13400DF 000069DE
	v_add_u32_e64 v224, v223, s52                              // 0000000039A4: D13400E0 000069DF
	v_add_u32_e64 v225, v224, s52                              // 0000000039AC: D13400E1 000069E0
	v_add_u32_e64 v226, v225, s52                              // 0000000039B4: D13400E2 000069E1
	v_add_u32_e64 v227, v226, s52                              // 0000000039BC: D13400E3 000069E2
	v_add_u32_e64 v228, v227, s52                              // 0000000039C4: D13400E4 000069E3
	v_add_u32_e64 v229, v228, s52                              // 0000000039CC: D13400E5 000069E4
	v_add_u32_e64 v230, v229, s52                              // 0000000039D4: D13400E6 000069E5
	v_add_u32_e64 v231, v230, s52                              // 0000000039DC: D13400E7 000069E6
	v_add_u32_e64 v232, v231, s52                              // 0000000039E4: D13400E8 000069E7
	v_add_u32_e64 v233, v232, s52                              // 0000000039EC: D13400E9 000069E8
	v_add_u32_e64 v234, v233, s52                              // 0000000039F4: D13400EA 000069E9
	v_add_u32_e64 v235, v234, s52                              // 0000000039FC: D13400EB 000069EA

0000000000003a04 <label_0441>:
	s_mov_b32 s49, 0                                           // 000000003A04: BEB10080
	s_mov_b32 s50, s45                                         // 000000003A08: BEB2002D
	s_cmp_lt_u32 0x80, s50                                     // 000000003A0C: BF0A32FF 00000080
	s_cselect_b32 s62, s62, 0                                  // 000000003A14: 853E803E
	s_cmp_lt_u32 64, s50                                       // 000000003A18: BF0A32C0
	s_cselect_b32 s63, s63, 0                                  // 000000003A1C: 853F803F
	s_cmp_lt_i32 s48, 2                                        // 000000003A20: BF048230
	s_cbranch_scc0 label_079A                                  // 000000003A24: BF840349

0000000000003a28 <label_044A>:
	s_waitcnt vmcnt(8) lgkmcnt(0)                              // 000000003A28: BF8C0078
	s_barrier                                                  // 000000003A2C: BF8A0000
	v_mfma_f32_16x16x32_bf16 a[0:3], v[136:139], v[8:11], a[0:3]// 000000003A30: D3B58000 04021188
	s_add_u32 m0, 0, s61                                       // 000000003A38: 807C3D80
	buffer_load_dwordx4 v210, s[16:19], 0 offen lds            // 000000003A3C: E05D1000 800400D2
	v_mfma_f32_16x16x32_bf16 a[4:7], v[136:139], v[12:15], a[4:7]// 000000003A44: D3B58004 04121988
	ds_read_b128 v[72:75], v208 offset:16896                   // 000000003A4C: D9FE4200 480000D0
	v_mfma_f32_16x16x32_bf16 a[8:11], v[136:139], v[16:19], a[8:11]// 000000003A54: D3B58008 04222188
	v_mfma_f32_16x16x32_bf16 a[12:15], v[136:139], v[20:23], a[12:15]// 000000003A5C: D3B5800C 04322988
	ds_read_b128 v[104:107], v208 offset:16960                 // 000000003A64: D9FE4240 680000D0
	v_mfma_f32_16x16x32_bf16 a[16:19], v[136:139], v[24:27], a[16:19]// 000000003A6C: D3B58010 04423188
	v_mfma_f32_16x16x32_bf16 a[20:23], v[136:139], v[28:31], a[20:23]// 000000003A74: D3B58014 04523988
	ds_read_b128 v[76:79], v208 offset:17408                   // 000000003A7C: D9FE4400 4C0000D0
	v_mfma_f32_16x16x32_bf16 a[24:27], v[136:139], v[32:35], a[24:27]// 000000003A84: D3B58018 04624188
	v_mfma_f32_16x16x32_bf16 a[28:31], v[136:139], v[36:39], a[28:31]// 000000003A8C: D3B5801C 04724988
	ds_read_b128 v[108:111], v208 offset:17472                 // 000000003A94: D9FE4440 6C0000D0
	v_mfma_f32_16x16x32_bf16 a[32:35], v[140:143], v[8:11], a[32:35]// 000000003A9C: D3B58020 0482118C
	s_add_u32 m0, 0x1080, s61                                  // 000000003AA4: 807C3DFF 00001080
	buffer_load_dwordx4 v211, s[16:19], 0 offen lds            // 000000003AAC: E05D1000 800400D3
	v_mfma_f32_16x16x32_bf16 a[36:39], v[140:143], v[12:15], a[36:39]// 000000003AB4: D3B58024 0492198C
	ds_read_b128 v[80:83], v208 offset:21120                   // 000000003ABC: D9FE5280 500000D0
	v_mfma_f32_16x16x32_bf16 a[40:43], v[140:143], v[16:19], a[40:43]// 000000003AC4: D3B58028 04A2218C
	v_mfma_f32_16x16x32_bf16 a[44:47], v[140:143], v[20:23], a[44:47]// 000000003ACC: D3B5802C 04B2298C
	ds_read_b128 v[112:115], v208 offset:21184                 // 000000003AD4: D9FE52C0 700000D0
	v_mfma_f32_16x16x32_bf16 a[48:51], v[140:143], v[24:27], a[48:51]// 000000003ADC: D3B58030 04C2318C
	v_mfma_f32_16x16x32_bf16 a[52:55], v[140:143], v[28:31], a[52:55]// 000000003AE4: D3B58034 04D2398C
	ds_read_b128 v[84:87], v208 offset:21632                   // 000000003AEC: D9FE5480 540000D0
	v_mfma_f32_16x16x32_bf16 a[56:59], v[140:143], v[32:35], a[56:59]// 000000003AF4: D3B58038 04E2418C
	v_mfma_f32_16x16x32_bf16 a[60:63], v[140:143], v[36:39], a[60:63]// 000000003AFC: D3B5803C 04F2498C
	ds_read_b128 v[116:119], v208 offset:21696                 // 000000003B04: D9FE54C0 740000D0
	v_mfma_f32_16x16x32_bf16 a[64:67], v[144:147], v[8:11], a[64:67]// 000000003B0C: D3B58040 05021190
	s_add_u32 m0, 0x2100, s61                                  // 000000003B14: 807C3DFF 00002100
	buffer_load_dwordx4 v212, s[16:19], 0 offen lds            // 000000003B1C: E05D1000 800400D4
	v_mfma_f32_16x16x32_bf16 a[68:71], v[144:147], v[12:15], a[68:71]// 000000003B24: D3B58044 05121990
	ds_read_b128 v[88:91], v208 offset:25344                   // 000000003B2C: D9FE6300 580000D0
	v_mfma_f32_16x16x32_bf16 a[72:75], v[144:147], v[16:19], a[72:75]// 000000003B34: D3B58048 05222190
	v_mfma_f32_16x16x32_bf16 a[76:79], v[144:147], v[20:23], a[76:79]// 000000003B3C: D3B5804C 05322990
	ds_read_b128 v[120:123], v208 offset:25408                 // 000000003B44: D9FE6340 780000D0
	v_mfma_f32_16x16x32_bf16 a[80:83], v[144:147], v[24:27], a[80:83]// 000000003B4C: D3B58050 05423190
	v_mfma_f32_16x16x32_bf16 a[84:87], v[144:147], v[28:31], a[84:87]// 000000003B54: D3B58054 05523990
	ds_read_b128 v[92:95], v208 offset:25856                   // 000000003B5C: D9FE6500 5C0000D0
	v_mfma_f32_16x16x32_bf16 a[88:91], v[144:147], v[32:35], a[88:91]// 000000003B64: D3B58058 05624190
	v_mfma_f32_16x16x32_bf16 a[92:95], v[144:147], v[36:39], a[92:95]// 000000003B6C: D3B5805C 05724990
	ds_read_b128 v[124:127], v208 offset:25920                 // 000000003B74: D9FE6540 7C0000D0
	v_mfma_f32_16x16x32_bf16 a[96:99], v[148:151], v[8:11], a[96:99]// 000000003B7C: D3B58060 05821194
	s_add_u32 m0, 0x3180, s61                                  // 000000003B84: 807C3DFF 00003180
	buffer_load_dwordx4 v213, s[16:19], 0 offen lds            // 000000003B8C: E05D1000 800400D5
	v_mfma_f32_16x16x32_bf16 a[100:103], v[148:151], v[12:15], a[100:103]// 000000003B94: D3B58064 05921994
	ds_read_b128 v[96:99], v208 offset:29568                   // 000000003B9C: D9FE7380 600000D0
	v_mfma_f32_16x16x32_bf16 a[104:107], v[148:151], v[16:19], a[104:107]// 000000003BA4: D3B58068 05A22194
	v_mfma_f32_16x16x32_bf16 a[108:111], v[148:151], v[20:23], a[108:111]// 000000003BAC: D3B5806C 05B22994
	ds_read_b128 v[128:131], v208 offset:29632                 // 000000003BB4: D9FE73C0 800000D0
	v_mfma_f32_16x16x32_bf16 a[112:115], v[148:151], v[24:27], a[112:115]// 000000003BBC: D3B58070 05C23194
	v_mfma_f32_16x16x32_bf16 a[116:119], v[148:151], v[28:31], a[116:119]// 000000003BC4: D3B58074 05D23994
	ds_read_b128 v[100:103], v208 offset:30080                 // 000000003BCC: D9FE7580 640000D0
	v_mfma_f32_16x16x32_bf16 a[120:123], v[148:151], v[32:35], a[120:123]// 000000003BD4: D3B58078 05E24194
	v_mfma_f32_16x16x32_bf16 a[124:127], v[148:151], v[36:39], a[124:127]// 000000003BDC: D3B5807C 05F24994
	ds_read_b128 v[132:135], v208 offset:30144                 // 000000003BE4: D9FE75C0 840000D0
	v_mfma_f32_16x16x32_bf16 a[0:3], v[152:155], v[40:43], a[0:3]// 000000003BEC: D3B58000 04025198
	s_add_u32 m0, 0x4200, s61                                  // 000000003BF4: 807C3DFF 00004200
	buffer_load_dwordx4 v214, s[16:19], 0 offen lds            // 000000003BFC: E05D1000 800400D6
	v_mfma_f32_16x16x32_bf16 a[4:7], v[152:155], v[44:47], a[4:7]// 000000003C04: D3B58004 04125998
	ds_read_b128 v[168:171], v219                              // 000000003C0C: D9FE0000 A80000DB
	v_mfma_f32_16x16x32_bf16 a[8:11], v[152:155], v[48:51], a[8:11]// 000000003C14: D3B58008 04226198
	v_mfma_f32_16x16x32_bf16 a[12:15], v[152:155], v[52:55], a[12:15]// 000000003C1C: D3B5800C 04326998
	ds_read_b128 v[184:187], v219 offset:64                    // 000000003C24: D9FE0040 B80000DB
	v_mfma_f32_16x16x32_bf16 a[16:19], v[152:155], v[56:59], a[16:19]// 000000003C2C: D3B58010 04427198
	v_mfma_f32_16x16x32_bf16 a[20:23], v[152:155], v[60:63], a[20:23]// 000000003C34: D3B58014 04527998
	ds_read_b128 v[172:175], v219 offset:512                   // 000000003C3C: D9FE0200 AC0000DB
	v_mfma_f32_16x16x32_bf16 a[24:27], v[152:155], v[64:67], a[24:27]// 000000003C44: D3B58018 04628198
	v_mfma_f32_16x16x32_bf16 a[28:31], v[152:155], v[68:71], a[28:31]// 000000003C4C: D3B5801C 04728998
	ds_read_b128 v[188:191], v219 offset:576                   // 000000003C54: D9FE0240 BC0000DB
	v_mfma_f32_16x16x32_bf16 a[32:35], v[156:159], v[40:43], a[32:35]// 000000003C5C: D3B58020 0482519C
	s_add_u32 m0, 0x5280, s61                                  // 000000003C64: 807C3DFF 00005280
	buffer_load_dwordx4 v215, s[16:19], 0 offen lds            // 000000003C6C: E05D1000 800400D7
	v_mfma_f32_16x16x32_bf16 a[36:39], v[156:159], v[44:47], a[36:39]// 000000003C74: D3B58024 0492599C
	ds_read_b128 v[176:179], v219 offset:4224                  // 000000003C7C: D9FE1080 B00000DB
	v_mfma_f32_16x16x32_bf16 a[40:43], v[156:159], v[48:51], a[40:43]// 000000003C84: D3B58028 04A2619C
	v_mfma_f32_16x16x32_bf16 a[44:47], v[156:159], v[52:55], a[44:47]// 000000003C8C: D3B5802C 04B2699C
	ds_read_b128 v[192:195], v219 offset:4288                  // 000000003C94: D9FE10C0 C00000DB
	v_mfma_f32_16x16x32_bf16 a[48:51], v[156:159], v[56:59], a[48:51]// 000000003C9C: D3B58030 04C2719C
	v_mfma_f32_16x16x32_bf16 a[52:55], v[156:159], v[60:63], a[52:55]// 000000003CA4: D3B58034 04D2799C
	ds_read_b128 v[180:183], v219 offset:4736                  // 000000003CAC: D9FE1280 B40000DB
	v_mfma_f32_16x16x32_bf16 a[56:59], v[156:159], v[64:67], a[56:59]// 000000003CB4: D3B58038 04E2819C
	v_mfma_f32_16x16x32_bf16 a[60:63], v[156:159], v[68:71], a[60:63]// 000000003CBC: D3B5803C 04F2899C
	ds_read_b128 v[196:199], v219 offset:4800                  // 000000003CC4: D9FE12C0 C40000DB
	v_mfma_f32_16x16x32_bf16 a[64:67], v[160:163], v[40:43], a[64:67]// 000000003CCC: D3B58040 050251A0
	s_add_u32 m0, 0x6300, s61                                  // 000000003CD4: 807C3DFF 00006300
	buffer_load_dwordx4 v216, s[16:19], 0 offen lds            // 000000003CDC: E05D1000 800400D8
	v_mfma_f32_16x16x32_bf16 a[68:71], v[160:163], v[44:47], a[68:71]// 000000003CE4: D3B58044 051259A0
	v_mfma_f32_16x16x32_bf16 a[72:75], v[160:163], v[48:51], a[72:75]// 000000003CEC: D3B58048 052261A0
	v_mfma_f32_16x16x32_bf16 a[76:79], v[160:163], v[52:55], a[76:79]// 000000003CF4: D3B5804C 053269A0
	v_mfma_f32_16x16x32_bf16 a[80:83], v[160:163], v[56:59], a[80:83]// 000000003CFC: D3B58050 054271A0
	v_mfma_f32_16x16x32_bf16 a[84:87], v[160:163], v[60:63], a[84:87]// 000000003D04: D3B58054 055279A0
	v_mfma_f32_16x16x32_bf16 a[88:91], v[160:163], v[64:67], a[88:91]// 000000003D0C: D3B58058 056281A0
	v_mfma_f32_16x16x32_bf16 a[92:95], v[160:163], v[68:71], a[92:95]// 000000003D14: D3B5805C 057289A0
	v_mfma_f32_16x16x32_bf16 a[96:99], v[164:167], v[40:43], a[96:99]// 000000003D1C: D3B58060 058251A4
	s_add_u32 m0, 0x7380, s61                                  // 000000003D24: 807C3DFF 00007380
	buffer_load_dwordx4 v217, s[16:19], 0 offen lds            // 000000003D2C: E05D1000 800400D9
	v_mfma_f32_16x16x32_bf16 a[100:103], v[164:167], v[44:47], a[100:103]// 000000003D34: D3B58064 059259A4
	v_mfma_f32_16x16x32_bf16 a[104:107], v[164:167], v[48:51], a[104:107]// 000000003D3C: D3B58068 05A261A4
	s_add_u32 s52, 0x80, s49                                   // 000000003D44: 803431FF 00000080
	s_cmp_lt_u32 s52, s50                                      // 000000003D4C: BF0A3234
	s_cselect_b32 s63, s63, 0                                  // 000000003D50: 853F803F
	v_mfma_f32_16x16x32_bf16 a[108:111], v[164:167], v[52:55], a[108:111]// 000000003D54: D3B5806C 05B269A4
	s_add_u32 s16, s63, s16                                    // 000000003D5C: 8010103F
	s_addc_u32 s17, 0, s17                                     // 000000003D60: 82111180
	s_sub_u32 s18, s18, s63                                    // 000000003D64: 80923F12
	v_mfma_f32_16x16x32_bf16 a[112:115], v[164:167], v[56:59], a[112:115]// 000000003D68: D3B58070 05C271A4
	v_mfma_f32_16x16x32_bf16 a[116:119], v[164:167], v[60:63], a[116:119]// 000000003D70: D3B58074 05D279A4
	v_mfma_f32_16x16x32_bf16 a[120:123], v[164:167], v[64:67], a[120:123]// 000000003D78: D3B58078 05E281A4
	v_mfma_f32_16x16x32_bf16 a[124:127], v[164:167], v[68:71], a[124:127]// 000000003D80: D3B5807C 05F289A4
	s_waitcnt vmcnt(12) lgkmcnt(0)                             // 000000003D88: BF8C007C
	s_barrier                                                  // 000000003D8C: BF8A0000
	v_mfma_f32_16x16x32_bf16 a[128:131], v[136:139], v[72:75], a[128:131]// 000000003D90: D3B58080 06029188
	s_add_u32 m0, 0, s60                                       // 000000003D98: 807C3C80
	buffer_load_dwordx4 v200, s[12:15], 0 offen lds            // 000000003D9C: E05D1000 800300C8
	v_mfma_f32_16x16x32_bf16 a[132:135], v[136:139], v[76:79], a[132:135]// 000000003DA4: D3B58084 06129988
	ds_read_b128 v[8:11], v209                                 // 000000003DAC: D9FE0000 080000D1
	v_mfma_f32_16x16x32_bf16 a[136:139], v[136:139], v[80:83], a[136:139]// 000000003DB4: D3B58088 0622A188
	v_mfma_f32_16x16x32_bf16 a[140:143], v[136:139], v[84:87], a[140:143]// 000000003DBC: D3B5808C 0632A988
	ds_read_b128 v[40:43], v209 offset:64                      // 000000003DC4: D9FE0040 280000D1
	v_mfma_f32_16x16x32_bf16 a[144:147], v[136:139], v[88:91], a[144:147]// 000000003DCC: D3B58090 0642B188
	v_mfma_f32_16x16x32_bf16 a[148:151], v[136:139], v[92:95], a[148:151]// 000000003DD4: D3B58094 0652B988
	ds_read_b128 v[12:15], v209 offset:512                     // 000000003DDC: D9FE0200 0C0000D1
	v_mfma_f32_16x16x32_bf16 a[152:155], v[136:139], v[96:99], a[152:155]// 000000003DE4: D3B58098 0662C188
	v_mfma_f32_16x16x32_bf16 a[156:159], v[136:139], v[100:103], a[156:159]// 000000003DEC: D3B5809C 0672C988
	ds_read_b128 v[44:47], v209 offset:576                     // 000000003DF4: D9FE0240 2C0000D1
	v_mfma_f32_16x16x32_bf16 a[160:163], v[140:143], v[72:75], a[160:163]// 000000003DFC: D3B580A0 0682918C
	s_add_u32 m0, 0x1080, s60                                  // 000000003E04: 807C3CFF 00001080
	buffer_load_dwordx4 v201, s[12:15], 0 offen lds            // 000000003E0C: E05D1000 800300C9
	v_mfma_f32_16x16x32_bf16 a[164:167], v[140:143], v[76:79], a[164:167]// 000000003E14: D3B580A4 0692998C
	ds_read_b128 v[16:19], v209 offset:4224                    // 000000003E1C: D9FE1080 100000D1
	v_mfma_f32_16x16x32_bf16 a[168:171], v[140:143], v[80:83], a[168:171]// 000000003E24: D3B580A8 06A2A18C
	v_mfma_f32_16x16x32_bf16 a[172:175], v[140:143], v[84:87], a[172:175]// 000000003E2C: D3B580AC 06B2A98C
	ds_read_b128 v[48:51], v209 offset:4288                    // 000000003E34: D9FE10C0 300000D1
	v_mfma_f32_16x16x32_bf16 a[176:179], v[140:143], v[88:91], a[176:179]// 000000003E3C: D3B580B0 06C2B18C
	v_mfma_f32_16x16x32_bf16 a[180:183], v[140:143], v[92:95], a[180:183]// 000000003E44: D3B580B4 06D2B98C
	ds_read_b128 v[20:23], v209 offset:4736                    // 000000003E4C: D9FE1280 140000D1
	v_mfma_f32_16x16x32_bf16 a[184:187], v[140:143], v[96:99], a[184:187]// 000000003E54: D3B580B8 06E2C18C
	v_mfma_f32_16x16x32_bf16 a[188:191], v[140:143], v[100:103], a[188:191]// 000000003E5C: D3B580BC 06F2C98C
	ds_read_b128 v[52:55], v209 offset:4800                    // 000000003E64: D9FE12C0 340000D1
	v_mfma_f32_16x16x32_bf16 a[192:195], v[144:147], v[72:75], a[192:195]// 000000003E6C: D3B580C0 07029190
	s_add_u32 m0, 0x2100, s60                                  // 000000003E74: 807C3CFF 00002100
	buffer_load_dwordx4 v202, s[12:15], 0 offen lds            // 000000003E7C: E05D1000 800300CA
	v_mfma_f32_16x16x32_bf16 a[196:199], v[144:147], v[76:79], a[196:199]// 000000003E84: D3B580C4 07129990
	ds_read_b128 v[24:27], v209 offset:8448                    // 000000003E8C: D9FE2100 180000D1
	v_mfma_f32_16x16x32_bf16 a[200:203], v[144:147], v[80:83], a[200:203]// 000000003E94: D3B580C8 0722A190
	v_mfma_f32_16x16x32_bf16 a[204:207], v[144:147], v[84:87], a[204:207]// 000000003E9C: D3B580CC 0732A990
	ds_read_b128 v[56:59], v209 offset:8512                    // 000000003EA4: D9FE2140 380000D1
	v_mfma_f32_16x16x32_bf16 a[208:211], v[144:147], v[88:91], a[208:211]// 000000003EAC: D3B580D0 0742B190
	v_mfma_f32_16x16x32_bf16 a[212:215], v[144:147], v[92:95], a[212:215]// 000000003EB4: D3B580D4 0752B990
	ds_read_b128 v[28:31], v209 offset:8960                    // 000000003EBC: D9FE2300 1C0000D1
	v_mfma_f32_16x16x32_bf16 a[216:219], v[144:147], v[96:99], a[216:219]// 000000003EC4: D3B580D8 0762C190
	v_mfma_f32_16x16x32_bf16 a[220:223], v[144:147], v[100:103], a[220:223]// 000000003ECC: D3B580DC 0772C990
	ds_read_b128 v[60:63], v209 offset:9024                    // 000000003ED4: D9FE2340 3C0000D1
	v_mfma_f32_16x16x32_bf16 a[224:227], v[148:151], v[72:75], a[224:227]// 000000003EDC: D3B580E0 07829194
	s_add_u32 m0, 0x3180, s60                                  // 000000003EE4: 807C3CFF 00003180
	buffer_load_dwordx4 v203, s[12:15], 0 offen lds            // 000000003EEC: E05D1000 800300CB
	v_mfma_f32_16x16x32_bf16 a[228:231], v[148:151], v[76:79], a[228:231]// 000000003EF4: D3B580E4 07929994
	ds_read_b128 v[32:35], v209 offset:12672                   // 000000003EFC: D9FE3180 200000D1
	v_mfma_f32_16x16x32_bf16 a[232:235], v[148:151], v[80:83], a[232:235]// 000000003F04: D3B580E8 07A2A194
	v_mfma_f32_16x16x32_bf16 a[236:239], v[148:151], v[84:87], a[236:239]// 000000003F0C: D3B580EC 07B2A994
	ds_read_b128 v[64:67], v209 offset:12736                   // 000000003F14: D9FE31C0 400000D1
	v_mfma_f32_16x16x32_bf16 a[240:243], v[148:151], v[88:91], a[240:243]// 000000003F1C: D3B580F0 07C2B194
	v_mfma_f32_16x16x32_bf16 a[244:247], v[148:151], v[92:95], a[244:247]// 000000003F24: D3B580F4 07D2B994
	ds_read_b128 v[36:39], v209 offset:13184                   // 000000003F2C: D9FE3380 240000D1
	v_mfma_f32_16x16x32_bf16 a[248:251], v[148:151], v[96:99], a[248:251]// 000000003F34: D3B580F8 07E2C194
	v_mfma_f32_16x16x32_bf16 a[252:255], v[148:151], v[100:103], a[252:255]// 000000003F3C: D3B580FC 07F2C994
	ds_read_b128 v[68:71], v209 offset:13248                   // 000000003F44: D9FE33C0 440000D1
	v_mfma_f32_16x16x32_bf16 a[128:131], v[152:155], v[104:107], a[128:131]// 000000003F4C: D3B58080 0602D198
	s_add_u32 m0, 0x4200, s60                                  // 000000003F54: 807C3CFF 00004200
	buffer_load_dwordx4 v204, s[12:15], 0 offen lds            // 000000003F5C: E05D1000 800300CC
	v_mfma_f32_16x16x32_bf16 a[132:135], v[152:155], v[108:111], a[132:135]// 000000003F64: D3B58084 0612D998
	v_mfma_f32_16x16x32_bf16 a[136:139], v[152:155], v[112:115], a[136:139]// 000000003F6C: D3B58088 0622E198
	v_mfma_f32_16x16x32_bf16 a[140:143], v[152:155], v[116:119], a[140:143]// 000000003F74: D3B5808C 0632E998
	v_mfma_f32_16x16x32_bf16 a[144:147], v[152:155], v[120:123], a[144:147]// 000000003F7C: D3B58090 0642F198
	v_mfma_f32_16x16x32_bf16 a[148:151], v[152:155], v[124:127], a[148:151]// 000000003F84: D3B58094 0652F998
	v_mfma_f32_16x16x32_bf16 a[152:155], v[152:155], v[128:131], a[152:155]// 000000003F8C: D3B58098 06630198
	v_mfma_f32_16x16x32_bf16 a[156:159], v[152:155], v[132:135], a[156:159]// 000000003F94: D3B5809C 06730998
	v_mfma_f32_16x16x32_bf16 a[160:163], v[156:159], v[104:107], a[160:163]// 000000003F9C: D3B580A0 0682D19C
	s_add_u32 m0, 0x5280, s60                                  // 000000003FA4: 807C3CFF 00005280
	buffer_load_dwordx4 v205, s[12:15], 0 offen lds            // 000000003FAC: E05D1000 800300CD
	v_mfma_f32_16x16x32_bf16 a[164:167], v[156:159], v[108:111], a[164:167]// 000000003FB4: D3B580A4 0692D99C
	v_mfma_f32_16x16x32_bf16 a[168:171], v[156:159], v[112:115], a[168:171]// 000000003FBC: D3B580A8 06A2E19C
	v_mfma_f32_16x16x32_bf16 a[172:175], v[156:159], v[116:119], a[172:175]// 000000003FC4: D3B580AC 06B2E99C
	v_mfma_f32_16x16x32_bf16 a[176:179], v[156:159], v[120:123], a[176:179]// 000000003FCC: D3B580B0 06C2F19C
	v_mfma_f32_16x16x32_bf16 a[180:183], v[156:159], v[124:127], a[180:183]// 000000003FD4: D3B580B4 06D2F99C
	v_mfma_f32_16x16x32_bf16 a[184:187], v[156:159], v[128:131], a[184:187]// 000000003FDC: D3B580B8 06E3019C
	v_mfma_f32_16x16x32_bf16 a[188:191], v[156:159], v[132:135], a[188:191]// 000000003FE4: D3B580BC 06F3099C
	v_mfma_f32_16x16x32_bf16 a[192:195], v[160:163], v[104:107], a[192:195]// 000000003FEC: D3B580C0 0702D1A0
	s_add_u32 m0, 0x6300, s60                                  // 000000003FF4: 807C3CFF 00006300
	buffer_load_dwordx4 v206, s[12:15], 0 offen lds            // 000000003FFC: E05D1000 800300CE
	v_mfma_f32_16x16x32_bf16 a[196:199], v[160:163], v[108:111], a[196:199]// 000000004004: D3B580C4 0712D9A0
	v_mfma_f32_16x16x32_bf16 a[200:203], v[160:163], v[112:115], a[200:203]// 00000000400C: D3B580C8 0722E1A0
	v_mfma_f32_16x16x32_bf16 a[204:207], v[160:163], v[116:119], a[204:207]// 000000004014: D3B580CC 0732E9A0
	v_mfma_f32_16x16x32_bf16 a[208:211], v[160:163], v[120:123], a[208:211]// 00000000401C: D3B580D0 0742F1A0
	v_mfma_f32_16x16x32_bf16 a[212:215], v[160:163], v[124:127], a[212:215]// 000000004024: D3B580D4 0752F9A0
	v_mfma_f32_16x16x32_bf16 a[216:219], v[160:163], v[128:131], a[216:219]// 00000000402C: D3B580D8 076301A0
	v_mfma_f32_16x16x32_bf16 a[220:223], v[160:163], v[132:135], a[220:223]// 000000004034: D3B580DC 077309A0
	v_mfma_f32_16x16x32_bf16 a[224:227], v[164:167], v[104:107], a[224:227]// 00000000403C: D3B580E0 0782D1A4
	s_add_u32 m0, 0x7380, s60                                  // 000000004044: 807C3CFF 00007380
	buffer_load_dwordx4 v207, s[12:15], 0 offen lds            // 00000000404C: E05D1000 800300CF
	v_mfma_f32_16x16x32_bf16 a[228:231], v[164:167], v[108:111], a[228:231]// 000000004054: D3B580E4 0792D9A4
	s_add_u32 s51, 0xc0, s49                                   // 00000000405C: 803331FF 000000C0
	s_cmp_lt_u32 s51, s50                                      // 000000004064: BF0A3233
	s_cselect_b32 s62, s62, 0                                  // 000000004068: 853E803E
	v_mfma_f32_16x16x32_bf16 a[232:235], v[164:167], v[112:115], a[232:235]// 00000000406C: D3B580E8 07A2E1A4
	s_add_u32 s12, s62, s12                                    // 000000004074: 800C0C3E
	s_addc_u32 s13, 0, s13                                     // 000000004078: 820D0D80
	s_sub_u32 s14, s14, s62                                    // 00000000407C: 808E3E0E
	v_mfma_f32_16x16x32_bf16 a[236:239], v[164:167], v[116:119], a[236:239]// 000000004080: D3B580EC 07B2E9A4
	v_mfma_f32_16x16x32_bf16 a[240:243], v[164:167], v[120:123], a[240:243]// 000000004088: D3B580F0 07C2F1A4
	s_addk_i32 s49, 0x40                                       // 000000004090: B7310040
	s_cmp_lt_i32 s49, s50                                      // 000000004094: BF043231
	v_mfma_f32_16x16x32_bf16 a[244:247], v[164:167], v[124:127], a[244:247]// 000000004098: D3B580F4 07D2F9A4
	v_mfma_f32_16x16x32_bf16 a[248:251], v[164:167], v[128:131], a[248:251]// 0000000040A0: D3B580F8 07E301A4
	v_mfma_f32_16x16x32_bf16 a[252:255], v[164:167], v[132:135], a[252:255]// 0000000040A8: D3B580FC 07F309A4
	s_cbranch_scc0 label_0AE3                                  // 0000000040B0: BF8404EF
	s_waitcnt vmcnt(8) lgkmcnt(0)                              // 0000000040B4: BF8C0078
	s_barrier                                                  // 0000000040B8: BF8A0000
	v_mfma_f32_16x16x32_bf16 a[0:3], v[168:171], v[8:11], a[0:3]// 0000000040BC: D3B58000 040211A8
	s_add_u32 m0, 0x8400, s61                                  // 0000000040C4: 807C3DFF 00008400
	buffer_load_dwordx4 v210, s[16:19], 0 offen lds            // 0000000040CC: E05D1000 800400D2
	v_mfma_f32_16x16x32_bf16 a[4:7], v[168:171], v[12:15], a[4:7]// 0000000040D4: D3B58004 041219A8
	ds_read_b128 v[72:75], v209 offset:16896                   // 0000000040DC: D9FE4200 480000D1
	v_mfma_f32_16x16x32_bf16 a[8:11], v[168:171], v[16:19], a[8:11]// 0000000040E4: D3B58008 042221A8
	v_mfma_f32_16x16x32_bf16 a[12:15], v[168:171], v[20:23], a[12:15]// 0000000040EC: D3B5800C 043229A8
	ds_read_b128 v[104:107], v209 offset:16960                 // 0000000040F4: D9FE4240 680000D1
	v_mfma_f32_16x16x32_bf16 a[16:19], v[168:171], v[24:27], a[16:19]// 0000000040FC: D3B58010 044231A8
	v_mfma_f32_16x16x32_bf16 a[20:23], v[168:171], v[28:31], a[20:23]// 000000004104: D3B58014 045239A8
	ds_read_b128 v[76:79], v209 offset:17408                   // 00000000410C: D9FE4400 4C0000D1
	v_mfma_f32_16x16x32_bf16 a[24:27], v[168:171], v[32:35], a[24:27]// 000000004114: D3B58018 046241A8
	v_mfma_f32_16x16x32_bf16 a[28:31], v[168:171], v[36:39], a[28:31]// 00000000411C: D3B5801C 047249A8
	ds_read_b128 v[108:111], v209 offset:17472                 // 000000004124: D9FE4440 6C0000D1
	v_mfma_f32_16x16x32_bf16 a[32:35], v[172:175], v[8:11], a[32:35]// 00000000412C: D3B58020 048211AC
	s_add_u32 m0, 0x9480, s61                                  // 000000004134: 807C3DFF 00009480
	buffer_load_dwordx4 v211, s[16:19], 0 offen lds            // 00000000413C: E05D1000 800400D3
	v_mfma_f32_16x16x32_bf16 a[36:39], v[172:175], v[12:15], a[36:39]// 000000004144: D3B58024 049219AC
	ds_read_b128 v[80:83], v209 offset:21120                   // 00000000414C: D9FE5280 500000D1
	v_mfma_f32_16x16x32_bf16 a[40:43], v[172:175], v[16:19], a[40:43]// 000000004154: D3B58028 04A221AC
	v_mfma_f32_16x16x32_bf16 a[44:47], v[172:175], v[20:23], a[44:47]// 00000000415C: D3B5802C 04B229AC
	ds_read_b128 v[112:115], v209 offset:21184                 // 000000004164: D9FE52C0 700000D1
	v_mfma_f32_16x16x32_bf16 a[48:51], v[172:175], v[24:27], a[48:51]// 00000000416C: D3B58030 04C231AC
	v_mfma_f32_16x16x32_bf16 a[52:55], v[172:175], v[28:31], a[52:55]// 000000004174: D3B58034 04D239AC
	ds_read_b128 v[84:87], v209 offset:21632                   // 00000000417C: D9FE5480 540000D1
	v_mfma_f32_16x16x32_bf16 a[56:59], v[172:175], v[32:35], a[56:59]// 000000004184: D3B58038 04E241AC
	v_mfma_f32_16x16x32_bf16 a[60:63], v[172:175], v[36:39], a[60:63]// 00000000418C: D3B5803C 04F249AC
	ds_read_b128 v[116:119], v209 offset:21696                 // 000000004194: D9FE54C0 740000D1
	v_mfma_f32_16x16x32_bf16 a[64:67], v[176:179], v[8:11], a[64:67]// 00000000419C: D3B58040 050211B0
	s_add_u32 m0, 0xa500, s61                                  // 0000000041A4: 807C3DFF 0000A500
	buffer_load_dwordx4 v212, s[16:19], 0 offen lds            // 0000000041AC: E05D1000 800400D4
	v_mfma_f32_16x16x32_bf16 a[68:71], v[176:179], v[12:15], a[68:71]// 0000000041B4: D3B58044 051219B0
	ds_read_b128 v[88:91], v209 offset:25344                   // 0000000041BC: D9FE6300 580000D1
	v_mfma_f32_16x16x32_bf16 a[72:75], v[176:179], v[16:19], a[72:75]// 0000000041C4: D3B58048 052221B0
	v_mfma_f32_16x16x32_bf16 a[76:79], v[176:179], v[20:23], a[76:79]// 0000000041CC: D3B5804C 053229B0
	ds_read_b128 v[120:123], v209 offset:25408                 // 0000000041D4: D9FE6340 780000D1
	v_mfma_f32_16x16x32_bf16 a[80:83], v[176:179], v[24:27], a[80:83]// 0000000041DC: D3B58050 054231B0
	v_mfma_f32_16x16x32_bf16 a[84:87], v[176:179], v[28:31], a[84:87]// 0000000041E4: D3B58054 055239B0
	ds_read_b128 v[92:95], v209 offset:25856                   // 0000000041EC: D9FE6500 5C0000D1
	v_mfma_f32_16x16x32_bf16 a[88:91], v[176:179], v[32:35], a[88:91]// 0000000041F4: D3B58058 056241B0
	v_mfma_f32_16x16x32_bf16 a[92:95], v[176:179], v[36:39], a[92:95]// 0000000041FC: D3B5805C 057249B0
	ds_read_b128 v[124:127], v209 offset:25920                 // 000000004204: D9FE6540 7C0000D1
	v_mfma_f32_16x16x32_bf16 a[96:99], v[180:183], v[8:11], a[96:99]// 00000000420C: D3B58060 058211B4
	s_add_u32 m0, 0xb580, s61                                  // 000000004214: 807C3DFF 0000B580
	buffer_load_dwordx4 v213, s[16:19], 0 offen lds            // 00000000421C: E05D1000 800400D5
	v_mfma_f32_16x16x32_bf16 a[100:103], v[180:183], v[12:15], a[100:103]// 000000004224: D3B58064 059219B4
	ds_read_b128 v[96:99], v209 offset:29568                   // 00000000422C: D9FE7380 600000D1
	v_mfma_f32_16x16x32_bf16 a[104:107], v[180:183], v[16:19], a[104:107]// 000000004234: D3B58068 05A221B4
	v_mfma_f32_16x16x32_bf16 a[108:111], v[180:183], v[20:23], a[108:111]// 00000000423C: D3B5806C 05B229B4
	ds_read_b128 v[128:131], v209 offset:29632                 // 000000004244: D9FE73C0 800000D1
	v_mfma_f32_16x16x32_bf16 a[112:115], v[180:183], v[24:27], a[112:115]// 00000000424C: D3B58070 05C231B4
	v_mfma_f32_16x16x32_bf16 a[116:119], v[180:183], v[28:31], a[116:119]// 000000004254: D3B58074 05D239B4
	ds_read_b128 v[100:103], v209 offset:30080                 // 00000000425C: D9FE7580 640000D1
	v_mfma_f32_16x16x32_bf16 a[120:123], v[180:183], v[32:35], a[120:123]// 000000004264: D3B58078 05E241B4
	v_mfma_f32_16x16x32_bf16 a[124:127], v[180:183], v[36:39], a[124:127]// 00000000426C: D3B5807C 05F249B4
	ds_read_b128 v[132:135], v209 offset:30144                 // 000000004274: D9FE75C0 840000D1
	v_mfma_f32_16x16x32_bf16 a[0:3], v[184:187], v[40:43], a[0:3]// 00000000427C: D3B58000 040251B8
	s_add_u32 m0, 0xc600, s61                                  // 000000004284: 807C3DFF 0000C600
	buffer_load_dwordx4 v214, s[16:19], 0 offen lds            // 00000000428C: E05D1000 800400D6
	v_mfma_f32_16x16x32_bf16 a[4:7], v[184:187], v[44:47], a[4:7]// 000000004294: D3B58004 041259B8
	ds_read_b128 v[136:139], v218                              // 00000000429C: D9FE0000 880000DA
	v_mfma_f32_16x16x32_bf16 a[8:11], v[184:187], v[48:51], a[8:11]// 0000000042A4: D3B58008 042261B8
	v_mfma_f32_16x16x32_bf16 a[12:15], v[184:187], v[52:55], a[12:15]// 0000000042AC: D3B5800C 043269B8
	ds_read_b128 v[152:155], v218 offset:64                    // 0000000042B4: D9FE0040 980000DA
	v_mfma_f32_16x16x32_bf16 a[16:19], v[184:187], v[56:59], a[16:19]// 0000000042BC: D3B58010 044271B8
	v_mfma_f32_16x16x32_bf16 a[20:23], v[184:187], v[60:63], a[20:23]// 0000000042C4: D3B58014 045279B8
	ds_read_b128 v[140:143], v218 offset:512                   // 0000000042CC: D9FE0200 8C0000DA
	v_mfma_f32_16x16x32_bf16 a[24:27], v[184:187], v[64:67], a[24:27]// 0000000042D4: D3B58018 046281B8
	v_mfma_f32_16x16x32_bf16 a[28:31], v[184:187], v[68:71], a[28:31]// 0000000042DC: D3B5801C 047289B8
	ds_read_b128 v[156:159], v218 offset:576                   // 0000000042E4: D9FE0240 9C0000DA
	v_mfma_f32_16x16x32_bf16 a[32:35], v[188:191], v[40:43], a[32:35]// 0000000042EC: D3B58020 048251BC
	s_add_u32 m0, 0xd680, s61                                  // 0000000042F4: 807C3DFF 0000D680
	buffer_load_dwordx4 v215, s[16:19], 0 offen lds            // 0000000042FC: E05D1000 800400D7
	v_mfma_f32_16x16x32_bf16 a[36:39], v[188:191], v[44:47], a[36:39]// 000000004304: D3B58024 049259BC
	ds_read_b128 v[144:147], v218 offset:4224                  // 00000000430C: D9FE1080 900000DA
	v_mfma_f32_16x16x32_bf16 a[40:43], v[188:191], v[48:51], a[40:43]// 000000004314: D3B58028 04A261BC
	v_mfma_f32_16x16x32_bf16 a[44:47], v[188:191], v[52:55], a[44:47]// 00000000431C: D3B5802C 04B269BC
	ds_read_b128 v[160:163], v218 offset:4288                  // 000000004324: D9FE10C0 A00000DA
	v_mfma_f32_16x16x32_bf16 a[48:51], v[188:191], v[56:59], a[48:51]// 00000000432C: D3B58030 04C271BC
	v_mfma_f32_16x16x32_bf16 a[52:55], v[188:191], v[60:63], a[52:55]// 000000004334: D3B58034 04D279BC
	ds_read_b128 v[148:151], v218 offset:4736                  // 00000000433C: D9FE1280 940000DA
	v_mfma_f32_16x16x32_bf16 a[56:59], v[188:191], v[64:67], a[56:59]// 000000004344: D3B58038 04E281BC
	v_mfma_f32_16x16x32_bf16 a[60:63], v[188:191], v[68:71], a[60:63]// 00000000434C: D3B5803C 04F289BC
	ds_read_b128 v[164:167], v218 offset:4800                  // 000000004354: D9FE12C0 A40000DA
	v_mfma_f32_16x16x32_bf16 a[64:67], v[192:195], v[40:43], a[64:67]// 00000000435C: D3B58040 050251C0
	s_add_u32 m0, 0xe700, s61                                  // 000000004364: 807C3DFF 0000E700
	buffer_load_dwordx4 v216, s[16:19], 0 offen lds            // 00000000436C: E05D1000 800400D8
	v_mfma_f32_16x16x32_bf16 a[68:71], v[192:195], v[44:47], a[68:71]// 000000004374: D3B58044 051259C0
	v_mfma_f32_16x16x32_bf16 a[72:75], v[192:195], v[48:51], a[72:75]// 00000000437C: D3B58048 052261C0
	v_mfma_f32_16x16x32_bf16 a[76:79], v[192:195], v[52:55], a[76:79]// 000000004384: D3B5804C 053269C0
	v_mfma_f32_16x16x32_bf16 a[80:83], v[192:195], v[56:59], a[80:83]// 00000000438C: D3B58050 054271C0
	v_mfma_f32_16x16x32_bf16 a[84:87], v[192:195], v[60:63], a[84:87]// 000000004394: D3B58054 055279C0
	v_mfma_f32_16x16x32_bf16 a[88:91], v[192:195], v[64:67], a[88:91]// 00000000439C: D3B58058 056281C0
	v_mfma_f32_16x16x32_bf16 a[92:95], v[192:195], v[68:71], a[92:95]// 0000000043A4: D3B5805C 057289C0
	v_mfma_f32_16x16x32_bf16 a[96:99], v[196:199], v[40:43], a[96:99]// 0000000043AC: D3B58060 058251C4
	s_add_u32 m0, 0xf780, s61                                  // 0000000043B4: 807C3DFF 0000F780
	buffer_load_dwordx4 v217, s[16:19], 0 offen lds            // 0000000043BC: E05D1000 800400D9
	v_mfma_f32_16x16x32_bf16 a[100:103], v[196:199], v[44:47], a[100:103]// 0000000043C4: D3B58064 059259C4
	v_mfma_f32_16x16x32_bf16 a[104:107], v[196:199], v[48:51], a[104:107]// 0000000043CC: D3B58068 05A261C4
	s_add_u32 s52, 0x80, s49                                   // 0000000043D4: 803431FF 00000080
	s_cmp_lt_u32 s52, s50                                      // 0000000043DC: BF0A3234
	s_cselect_b32 s63, s63, 0                                  // 0000000043E0: 853F803F
	v_mfma_f32_16x16x32_bf16 a[108:111], v[196:199], v[52:55], a[108:111]// 0000000043E4: D3B5806C 05B269C4
	s_add_u32 s16, s63, s16                                    // 0000000043EC: 8010103F
	s_addc_u32 s17, 0, s17                                     // 0000000043F0: 82111180
	s_sub_u32 s18, s18, s63                                    // 0000000043F4: 80923F12
	v_mfma_f32_16x16x32_bf16 a[112:115], v[196:199], v[56:59], a[112:115]// 0000000043F8: D3B58070 05C271C4
	v_mfma_f32_16x16x32_bf16 a[116:119], v[196:199], v[60:63], a[116:119]// 000000004400: D3B58074 05D279C4
	v_mfma_f32_16x16x32_bf16 a[120:123], v[196:199], v[64:67], a[120:123]// 000000004408: D3B58078 05E281C4
	v_mfma_f32_16x16x32_bf16 a[124:127], v[196:199], v[68:71], a[124:127]// 000000004410: D3B5807C 05F289C4
	s_waitcnt vmcnt(12) lgkmcnt(0)                             // 000000004418: BF8C007C
	s_barrier                                                  // 00000000441C: BF8A0000
	v_mfma_f32_16x16x32_bf16 a[128:131], v[168:171], v[72:75], a[128:131]// 000000004420: D3B58080 060291A8
	s_add_u32 m0, 0x8400, s60                                  // 000000004428: 807C3CFF 00008400
	buffer_load_dwordx4 v200, s[12:15], 0 offen lds            // 000000004430: E05D1000 800300C8
	v_mfma_f32_16x16x32_bf16 a[132:135], v[168:171], v[76:79], a[132:135]// 000000004438: D3B58084 061299A8
	ds_read_b128 v[8:11], v208                                 // 000000004440: D9FE0000 080000D0
	v_mfma_f32_16x16x32_bf16 a[136:139], v[168:171], v[80:83], a[136:139]// 000000004448: D3B58088 0622A1A8
	v_mfma_f32_16x16x32_bf16 a[140:143], v[168:171], v[84:87], a[140:143]// 000000004450: D3B5808C 0632A9A8
	ds_read_b128 v[40:43], v208 offset:64                      // 000000004458: D9FE0040 280000D0
	v_mfma_f32_16x16x32_bf16 a[144:147], v[168:171], v[88:91], a[144:147]// 000000004460: D3B58090 0642B1A8
	v_mfma_f32_16x16x32_bf16 a[148:151], v[168:171], v[92:95], a[148:151]// 000000004468: D3B58094 0652B9A8
	ds_read_b128 v[12:15], v208 offset:512                     // 000000004470: D9FE0200 0C0000D0
	v_mfma_f32_16x16x32_bf16 a[152:155], v[168:171], v[96:99], a[152:155]// 000000004478: D3B58098 0662C1A8
	v_mfma_f32_16x16x32_bf16 a[156:159], v[168:171], v[100:103], a[156:159]// 000000004480: D3B5809C 0672C9A8
	ds_read_b128 v[44:47], v208 offset:576                     // 000000004488: D9FE0240 2C0000D0
	v_mfma_f32_16x16x32_bf16 a[160:163], v[172:175], v[72:75], a[160:163]// 000000004490: D3B580A0 068291AC
	s_add_u32 m0, 0x9480, s60                                  // 000000004498: 807C3CFF 00009480
	buffer_load_dwordx4 v201, s[12:15], 0 offen lds            // 0000000044A0: E05D1000 800300C9
	v_mfma_f32_16x16x32_bf16 a[164:167], v[172:175], v[76:79], a[164:167]// 0000000044A8: D3B580A4 069299AC
	ds_read_b128 v[16:19], v208 offset:4224                    // 0000000044B0: D9FE1080 100000D0
	v_mfma_f32_16x16x32_bf16 a[168:171], v[172:175], v[80:83], a[168:171]// 0000000044B8: D3B580A8 06A2A1AC
	v_mfma_f32_16x16x32_bf16 a[172:175], v[172:175], v[84:87], a[172:175]// 0000000044C0: D3B580AC 06B2A9AC
	ds_read_b128 v[48:51], v208 offset:4288                    // 0000000044C8: D9FE10C0 300000D0
	v_mfma_f32_16x16x32_bf16 a[176:179], v[172:175], v[88:91], a[176:179]// 0000000044D0: D3B580B0 06C2B1AC
	v_mfma_f32_16x16x32_bf16 a[180:183], v[172:175], v[92:95], a[180:183]// 0000000044D8: D3B580B4 06D2B9AC
	ds_read_b128 v[20:23], v208 offset:4736                    // 0000000044E0: D9FE1280 140000D0
	v_mfma_f32_16x16x32_bf16 a[184:187], v[172:175], v[96:99], a[184:187]// 0000000044E8: D3B580B8 06E2C1AC
	v_mfma_f32_16x16x32_bf16 a[188:191], v[172:175], v[100:103], a[188:191]// 0000000044F0: D3B580BC 06F2C9AC
	ds_read_b128 v[52:55], v208 offset:4800                    // 0000000044F8: D9FE12C0 340000D0
	v_mfma_f32_16x16x32_bf16 a[192:195], v[176:179], v[72:75], a[192:195]// 000000004500: D3B580C0 070291B0
	s_add_u32 m0, 0xa500, s60                                  // 000000004508: 807C3CFF 0000A500
	buffer_load_dwordx4 v202, s[12:15], 0 offen lds            // 000000004510: E05D1000 800300CA
	v_mfma_f32_16x16x32_bf16 a[196:199], v[176:179], v[76:79], a[196:199]// 000000004518: D3B580C4 071299B0
	ds_read_b128 v[24:27], v208 offset:8448                    // 000000004520: D9FE2100 180000D0
	v_mfma_f32_16x16x32_bf16 a[200:203], v[176:179], v[80:83], a[200:203]// 000000004528: D3B580C8 0722A1B0
	v_mfma_f32_16x16x32_bf16 a[204:207], v[176:179], v[84:87], a[204:207]// 000000004530: D3B580CC 0732A9B0
	ds_read_b128 v[56:59], v208 offset:8512                    // 000000004538: D9FE2140 380000D0
	v_mfma_f32_16x16x32_bf16 a[208:211], v[176:179], v[88:91], a[208:211]// 000000004540: D3B580D0 0742B1B0
	v_mfma_f32_16x16x32_bf16 a[212:215], v[176:179], v[92:95], a[212:215]// 000000004548: D3B580D4 0752B9B0
	ds_read_b128 v[28:31], v208 offset:8960                    // 000000004550: D9FE2300 1C0000D0
	v_mfma_f32_16x16x32_bf16 a[216:219], v[176:179], v[96:99], a[216:219]// 000000004558: D3B580D8 0762C1B0
	v_mfma_f32_16x16x32_bf16 a[220:223], v[176:179], v[100:103], a[220:223]// 000000004560: D3B580DC 0772C9B0
	ds_read_b128 v[60:63], v208 offset:9024                    // 000000004568: D9FE2340 3C0000D0
	v_mfma_f32_16x16x32_bf16 a[224:227], v[180:183], v[72:75], a[224:227]// 000000004570: D3B580E0 078291B4
	s_add_u32 m0, 0xb580, s60                                  // 000000004578: 807C3CFF 0000B580
	buffer_load_dwordx4 v203, s[12:15], 0 offen lds            // 000000004580: E05D1000 800300CB
	v_mfma_f32_16x16x32_bf16 a[228:231], v[180:183], v[76:79], a[228:231]// 000000004588: D3B580E4 079299B4
	ds_read_b128 v[32:35], v208 offset:12672                   // 000000004590: D9FE3180 200000D0
	v_mfma_f32_16x16x32_bf16 a[232:235], v[180:183], v[80:83], a[232:235]// 000000004598: D3B580E8 07A2A1B4
	v_mfma_f32_16x16x32_bf16 a[236:239], v[180:183], v[84:87], a[236:239]// 0000000045A0: D3B580EC 07B2A9B4
	ds_read_b128 v[64:67], v208 offset:12736                   // 0000000045A8: D9FE31C0 400000D0
	v_mfma_f32_16x16x32_bf16 a[240:243], v[180:183], v[88:91], a[240:243]// 0000000045B0: D3B580F0 07C2B1B4
	v_mfma_f32_16x16x32_bf16 a[244:247], v[180:183], v[92:95], a[244:247]// 0000000045B8: D3B580F4 07D2B9B4
	ds_read_b128 v[36:39], v208 offset:13184                   // 0000000045C0: D9FE3380 240000D0
	v_mfma_f32_16x16x32_bf16 a[248:251], v[180:183], v[96:99], a[248:251]// 0000000045C8: D3B580F8 07E2C1B4
	v_mfma_f32_16x16x32_bf16 a[252:255], v[180:183], v[100:103], a[252:255]// 0000000045D0: D3B580FC 07F2C9B4
	ds_read_b128 v[68:71], v208 offset:13248                   // 0000000045D8: D9FE33C0 440000D0
	v_mfma_f32_16x16x32_bf16 a[128:131], v[184:187], v[104:107], a[128:131]// 0000000045E0: D3B58080 0602D1B8
	s_add_u32 m0, 0xc600, s60                                  // 0000000045E8: 807C3CFF 0000C600
	buffer_load_dwordx4 v204, s[12:15], 0 offen lds            // 0000000045F0: E05D1000 800300CC
	v_mfma_f32_16x16x32_bf16 a[132:135], v[184:187], v[108:111], a[132:135]// 0000000045F8: D3B58084 0612D9B8
	v_mfma_f32_16x16x32_bf16 a[136:139], v[184:187], v[112:115], a[136:139]// 000000004600: D3B58088 0622E1B8
	v_mfma_f32_16x16x32_bf16 a[140:143], v[184:187], v[116:119], a[140:143]// 000000004608: D3B5808C 0632E9B8
	v_mfma_f32_16x16x32_bf16 a[144:147], v[184:187], v[120:123], a[144:147]// 000000004610: D3B58090 0642F1B8
	v_mfma_f32_16x16x32_bf16 a[148:151], v[184:187], v[124:127], a[148:151]// 000000004618: D3B58094 0652F9B8
	v_mfma_f32_16x16x32_bf16 a[152:155], v[184:187], v[128:131], a[152:155]// 000000004620: D3B58098 066301B8
	v_mfma_f32_16x16x32_bf16 a[156:159], v[184:187], v[132:135], a[156:159]// 000000004628: D3B5809C 067309B8
	v_mfma_f32_16x16x32_bf16 a[160:163], v[188:191], v[104:107], a[160:163]// 000000004630: D3B580A0 0682D1BC
	s_add_u32 m0, 0xd680, s60                                  // 000000004638: 807C3CFF 0000D680
	buffer_load_dwordx4 v205, s[12:15], 0 offen lds            // 000000004640: E05D1000 800300CD
	v_mfma_f32_16x16x32_bf16 a[164:167], v[188:191], v[108:111], a[164:167]// 000000004648: D3B580A4 0692D9BC
	v_mfma_f32_16x16x32_bf16 a[168:171], v[188:191], v[112:115], a[168:171]// 000000004650: D3B580A8 06A2E1BC
	v_mfma_f32_16x16x32_bf16 a[172:175], v[188:191], v[116:119], a[172:175]// 000000004658: D3B580AC 06B2E9BC
	v_mfma_f32_16x16x32_bf16 a[176:179], v[188:191], v[120:123], a[176:179]// 000000004660: D3B580B0 06C2F1BC
	v_mfma_f32_16x16x32_bf16 a[180:183], v[188:191], v[124:127], a[180:183]// 000000004668: D3B580B4 06D2F9BC
	v_mfma_f32_16x16x32_bf16 a[184:187], v[188:191], v[128:131], a[184:187]// 000000004670: D3B580B8 06E301BC
	v_mfma_f32_16x16x32_bf16 a[188:191], v[188:191], v[132:135], a[188:191]// 000000004678: D3B580BC 06F309BC
	v_mfma_f32_16x16x32_bf16 a[192:195], v[192:195], v[104:107], a[192:195]// 000000004680: D3B580C0 0702D1C0
	s_add_u32 m0, 0xe700, s60                                  // 000000004688: 807C3CFF 0000E700
	buffer_load_dwordx4 v206, s[12:15], 0 offen lds            // 000000004690: E05D1000 800300CE
	v_mfma_f32_16x16x32_bf16 a[196:199], v[192:195], v[108:111], a[196:199]// 000000004698: D3B580C4 0712D9C0
	v_mfma_f32_16x16x32_bf16 a[200:203], v[192:195], v[112:115], a[200:203]// 0000000046A0: D3B580C8 0722E1C0
	v_mfma_f32_16x16x32_bf16 a[204:207], v[192:195], v[116:119], a[204:207]// 0000000046A8: D3B580CC 0732E9C0
	v_mfma_f32_16x16x32_bf16 a[208:211], v[192:195], v[120:123], a[208:211]// 0000000046B0: D3B580D0 0742F1C0
	v_mfma_f32_16x16x32_bf16 a[212:215], v[192:195], v[124:127], a[212:215]// 0000000046B8: D3B580D4 0752F9C0
	v_mfma_f32_16x16x32_bf16 a[216:219], v[192:195], v[128:131], a[216:219]// 0000000046C0: D3B580D8 076301C0
	v_mfma_f32_16x16x32_bf16 a[220:223], v[192:195], v[132:135], a[220:223]// 0000000046C8: D3B580DC 077309C0
	v_mfma_f32_16x16x32_bf16 a[224:227], v[196:199], v[104:107], a[224:227]// 0000000046D0: D3B580E0 0782D1C4
	s_add_u32 m0, 0xf780, s60                                  // 0000000046D8: 807C3CFF 0000F780
	buffer_load_dwordx4 v207, s[12:15], 0 offen lds            // 0000000046E0: E05D1000 800300CF
	v_mfma_f32_16x16x32_bf16 a[228:231], v[196:199], v[108:111], a[228:231]// 0000000046E8: D3B580E4 0792D9C4
	s_add_u32 s51, 0xc0, s49                                   // 0000000046F0: 803331FF 000000C0
	s_cmp_lt_u32 s51, s50                                      // 0000000046F8: BF0A3233
	s_cselect_b32 s62, s62, 0                                  // 0000000046FC: 853E803E
	v_mfma_f32_16x16x32_bf16 a[232:235], v[196:199], v[112:115], a[232:235]// 000000004700: D3B580E8 07A2E1C4
	s_add_u32 s12, s62, s12                                    // 000000004708: 800C0C3E
	s_addc_u32 s13, 0, s13                                     // 00000000470C: 820D0D80
	s_sub_u32 s14, s14, s62                                    // 000000004710: 808E3E0E
	v_mfma_f32_16x16x32_bf16 a[236:239], v[196:199], v[116:119], a[236:239]// 000000004714: D3B580EC 07B2E9C4
	v_mfma_f32_16x16x32_bf16 a[240:243], v[196:199], v[120:123], a[240:243]// 00000000471C: D3B580F0 07C2F1C4
	s_addk_i32 s49, 0x40                                       // 000000004724: B7310040
	s_cmp_lt_i32 s49, s50                                      // 000000004728: BF043231
	v_mfma_f32_16x16x32_bf16 a[244:247], v[196:199], v[124:127], a[244:247]// 00000000472C: D3B580F4 07D2F9C4
	v_mfma_f32_16x16x32_bf16 a[248:251], v[196:199], v[128:131], a[248:251]// 000000004734: D3B580F8 07E301C4
	v_mfma_f32_16x16x32_bf16 a[252:255], v[196:199], v[132:135], a[252:255]// 00000000473C: D3B580FC 07F309C4
	s_cbranch_scc0 label_0AE3                                  // 000000004744: BF84034A
	s_branch label_044A                                        // 000000004748: BF82FCB7

000000000000474c <label_079A>:
	s_waitcnt vmcnt(8) lgkmcnt(0)                              // 00000000474C: BF8C0078
	s_barrier                                                  // 000000004750: BF8A0000
	v_mfma_f32_16x16x32_bf16 a[0:3], v[136:139], v[8:11], a[0:3]// 000000004754: D3B58000 04021188
	v_mfma_f32_16x16x32_bf16 a[4:7], v[136:139], v[12:15], a[4:7]// 00000000475C: D3B58004 04121988
	ds_read_b128 v[72:75], v208 offset:16896                   // 000000004764: D9FE4200 480000D0
	v_mfma_f32_16x16x32_bf16 a[8:11], v[136:139], v[16:19], a[8:11]// 00000000476C: D3B58008 04222188
	s_add_u32 m0, 0, s61                                       // 000000004774: 807C3D80
	buffer_load_dwordx4 v210, s[16:19], 0 offen lds            // 000000004778: E05D1000 800400D2
	v_mfma_f32_16x16x32_bf16 a[12:15], v[136:139], v[20:23], a[12:15]// 000000004780: D3B5800C 04322988
	ds_read_b128 v[104:107], v208 offset:16960                 // 000000004788: D9FE4240 680000D0
	v_mfma_f32_16x16x32_bf16 a[16:19], v[136:139], v[24:27], a[16:19]// 000000004790: D3B58010 04423188
	v_mfma_f32_16x16x32_bf16 a[20:23], v[136:139], v[28:31], a[20:23]// 000000004798: D3B58014 04523988
	ds_read_b128 v[76:79], v208 offset:17408                   // 0000000047A0: D9FE4400 4C0000D0
	v_mfma_f32_16x16x32_bf16 a[24:27], v[136:139], v[32:35], a[24:27]// 0000000047A8: D3B58018 04624188
	v_mfma_f32_16x16x32_bf16 a[28:31], v[136:139], v[36:39], a[28:31]// 0000000047B0: D3B5801C 04724988
	ds_read_b128 v[108:111], v208 offset:17472                 // 0000000047B8: D9FE4440 6C0000D0
	v_mfma_f32_16x16x32_bf16 a[32:35], v[140:143], v[8:11], a[32:35]// 0000000047C0: D3B58020 0482118C
	v_mfma_f32_16x16x32_bf16 a[36:39], v[140:143], v[12:15], a[36:39]// 0000000047C8: D3B58024 0492198C
	ds_read_b128 v[80:83], v208 offset:21120                   // 0000000047D0: D9FE5280 500000D0
	v_mfma_f32_16x16x32_bf16 a[40:43], v[140:143], v[16:19], a[40:43]// 0000000047D8: D3B58028 04A2218C
	s_add_u32 m0, 0x1080, s61                                  // 0000000047E0: 807C3DFF 00001080
	buffer_load_dwordx4 v211, s[16:19], 0 offen lds            // 0000000047E8: E05D1000 800400D3
	v_mfma_f32_16x16x32_bf16 a[44:47], v[140:143], v[20:23], a[44:47]// 0000000047F0: D3B5802C 04B2298C
	ds_read_b128 v[112:115], v208 offset:21184                 // 0000000047F8: D9FE52C0 700000D0
	v_mfma_f32_16x16x32_bf16 a[48:51], v[140:143], v[24:27], a[48:51]// 000000004800: D3B58030 04C2318C
	v_mfma_f32_16x16x32_bf16 a[52:55], v[140:143], v[28:31], a[52:55]// 000000004808: D3B58034 04D2398C
	ds_read_b128 v[84:87], v208 offset:21632                   // 000000004810: D9FE5480 540000D0
	v_mfma_f32_16x16x32_bf16 a[56:59], v[140:143], v[32:35], a[56:59]// 000000004818: D3B58038 04E2418C
	v_mfma_f32_16x16x32_bf16 a[60:63], v[140:143], v[36:39], a[60:63]// 000000004820: D3B5803C 04F2498C
	ds_read_b128 v[116:119], v208 offset:21696                 // 000000004828: D9FE54C0 740000D0
	v_mfma_f32_16x16x32_bf16 a[64:67], v[144:147], v[8:11], a[64:67]// 000000004830: D3B58040 05021190
	v_mfma_f32_16x16x32_bf16 a[68:71], v[144:147], v[12:15], a[68:71]// 000000004838: D3B58044 05121990
	ds_read_b128 v[88:91], v208 offset:25344                   // 000000004840: D9FE6300 580000D0
	v_mfma_f32_16x16x32_bf16 a[72:75], v[144:147], v[16:19], a[72:75]// 000000004848: D3B58048 05222190
	s_add_u32 m0, 0x2100, s61                                  // 000000004850: 807C3DFF 00002100
	buffer_load_dwordx4 v212, s[16:19], 0 offen lds            // 000000004858: E05D1000 800400D4
	v_mfma_f32_16x16x32_bf16 a[76:79], v[144:147], v[20:23], a[76:79]// 000000004860: D3B5804C 05322990
	ds_read_b128 v[120:123], v208 offset:25408                 // 000000004868: D9FE6340 780000D0
	v_mfma_f32_16x16x32_bf16 a[80:83], v[144:147], v[24:27], a[80:83]// 000000004870: D3B58050 05423190
	v_mfma_f32_16x16x32_bf16 a[84:87], v[144:147], v[28:31], a[84:87]// 000000004878: D3B58054 05523990
	ds_read_b128 v[92:95], v208 offset:25856                   // 000000004880: D9FE6500 5C0000D0
	v_mfma_f32_16x16x32_bf16 a[88:91], v[144:147], v[32:35], a[88:91]// 000000004888: D3B58058 05624190
	v_mfma_f32_16x16x32_bf16 a[92:95], v[144:147], v[36:39], a[92:95]// 000000004890: D3B5805C 05724990
	ds_read_b128 v[124:127], v208 offset:25920                 // 000000004898: D9FE6540 7C0000D0
	v_mfma_f32_16x16x32_bf16 a[96:99], v[148:151], v[8:11], a[96:99]// 0000000048A0: D3B58060 05821194
	v_mfma_f32_16x16x32_bf16 a[100:103], v[148:151], v[12:15], a[100:103]// 0000000048A8: D3B58064 05921994
	ds_read_b128 v[96:99], v208 offset:29568                   // 0000000048B0: D9FE7380 600000D0
	v_mfma_f32_16x16x32_bf16 a[104:107], v[148:151], v[16:19], a[104:107]// 0000000048B8: D3B58068 05A22194
	s_add_u32 m0, 0x3180, s61                                  // 0000000048C0: 807C3DFF 00003180
	buffer_load_dwordx4 v213, s[16:19], 0 offen lds            // 0000000048C8: E05D1000 800400D5
	v_mfma_f32_16x16x32_bf16 a[108:111], v[148:151], v[20:23], a[108:111]// 0000000048D0: D3B5806C 05B22994
	ds_read_b128 v[128:131], v208 offset:29632                 // 0000000048D8: D9FE73C0 800000D0
	v_mfma_f32_16x16x32_bf16 a[112:115], v[148:151], v[24:27], a[112:115]// 0000000048E0: D3B58070 05C23194
	v_mfma_f32_16x16x32_bf16 a[116:119], v[148:151], v[28:31], a[116:119]// 0000000048E8: D3B58074 05D23994
	ds_read_b128 v[100:103], v208 offset:30080                 // 0000000048F0: D9FE7580 640000D0
	v_mfma_f32_16x16x32_bf16 a[120:123], v[148:151], v[32:35], a[120:123]// 0000000048F8: D3B58078 05E24194
	v_mfma_f32_16x16x32_bf16 a[124:127], v[148:151], v[36:39], a[124:127]// 000000004900: D3B5807C 05F24994
	ds_read_b128 v[132:135], v208 offset:30144                 // 000000004908: D9FE75C0 840000D0
	v_mfma_f32_16x16x32_bf16 a[0:3], v[152:155], v[40:43], a[0:3]// 000000004910: D3B58000 04025198
	v_mfma_f32_16x16x32_bf16 a[4:7], v[152:155], v[44:47], a[4:7]// 000000004918: D3B58004 04125998
	ds_read_b128 v[168:171], v219                              // 000000004920: D9FE0000 A80000DB
	v_mfma_f32_16x16x32_bf16 a[8:11], v[152:155], v[48:51], a[8:11]// 000000004928: D3B58008 04226198
	s_add_u32 m0, 0x4200, s61                                  // 000000004930: 807C3DFF 00004200
	buffer_load_dwordx4 v214, s[16:19], 0 offen lds            // 000000004938: E05D1000 800400D6
	v_mfma_f32_16x16x32_bf16 a[12:15], v[152:155], v[52:55], a[12:15]// 000000004940: D3B5800C 04326998
	ds_read_b128 v[184:187], v219 offset:64                    // 000000004948: D9FE0040 B80000DB
	v_mfma_f32_16x16x32_bf16 a[16:19], v[152:155], v[56:59], a[16:19]// 000000004950: D3B58010 04427198
	v_mfma_f32_16x16x32_bf16 a[20:23], v[152:155], v[60:63], a[20:23]// 000000004958: D3B58014 04527998
	ds_read_b128 v[172:175], v219 offset:512                   // 000000004960: D9FE0200 AC0000DB
	v_mfma_f32_16x16x32_bf16 a[24:27], v[152:155], v[64:67], a[24:27]// 000000004968: D3B58018 04628198
	v_mfma_f32_16x16x32_bf16 a[28:31], v[152:155], v[68:71], a[28:31]// 000000004970: D3B5801C 04728998
	ds_read_b128 v[188:191], v219 offset:576                   // 000000004978: D9FE0240 BC0000DB
	v_mfma_f32_16x16x32_bf16 a[32:35], v[156:159], v[40:43], a[32:35]// 000000004980: D3B58020 0482519C
	v_mfma_f32_16x16x32_bf16 a[36:39], v[156:159], v[44:47], a[36:39]// 000000004988: D3B58024 0492599C
	ds_read_b128 v[176:179], v219 offset:4224                  // 000000004990: D9FE1080 B00000DB
	v_mfma_f32_16x16x32_bf16 a[40:43], v[156:159], v[48:51], a[40:43]// 000000004998: D3B58028 04A2619C
	s_add_u32 m0, 0x5280, s61                                  // 0000000049A0: 807C3DFF 00005280
	buffer_load_dwordx4 v215, s[16:19], 0 offen lds            // 0000000049A8: E05D1000 800400D7
	v_mfma_f32_16x16x32_bf16 a[44:47], v[156:159], v[52:55], a[44:47]// 0000000049B0: D3B5802C 04B2699C
	ds_read_b128 v[192:195], v219 offset:4288                  // 0000000049B8: D9FE10C0 C00000DB
	v_mfma_f32_16x16x32_bf16 a[48:51], v[156:159], v[56:59], a[48:51]// 0000000049C0: D3B58030 04C2719C
	v_mfma_f32_16x16x32_bf16 a[52:55], v[156:159], v[60:63], a[52:55]// 0000000049C8: D3B58034 04D2799C
	ds_read_b128 v[180:183], v219 offset:4736                  // 0000000049D0: D9FE1280 B40000DB
	v_mfma_f32_16x16x32_bf16 a[56:59], v[156:159], v[64:67], a[56:59]// 0000000049D8: D3B58038 04E2819C
	v_mfma_f32_16x16x32_bf16 a[60:63], v[156:159], v[68:71], a[60:63]// 0000000049E0: D3B5803C 04F2899C
	ds_read_b128 v[196:199], v219 offset:4800                  // 0000000049E8: D9FE12C0 C40000DB
	v_mfma_f32_16x16x32_bf16 a[64:67], v[160:163], v[40:43], a[64:67]// 0000000049F0: D3B58040 050251A0
	v_mfma_f32_16x16x32_bf16 a[68:71], v[160:163], v[44:47], a[68:71]// 0000000049F8: D3B58044 051259A0
	v_mfma_f32_16x16x32_bf16 a[72:75], v[160:163], v[48:51], a[72:75]// 000000004A00: D3B58048 052261A0
	s_add_u32 m0, 0x6300, s61                                  // 000000004A08: 807C3DFF 00006300
	buffer_load_dwordx4 v216, s[16:19], 0 offen lds            // 000000004A10: E05D1000 800400D8
	v_mfma_f32_16x16x32_bf16 a[76:79], v[160:163], v[52:55], a[76:79]// 000000004A18: D3B5804C 053269A0
	v_mfma_f32_16x16x32_bf16 a[80:83], v[160:163], v[56:59], a[80:83]// 000000004A20: D3B58050 054271A0
	v_mfma_f32_16x16x32_bf16 a[84:87], v[160:163], v[60:63], a[84:87]// 000000004A28: D3B58054 055279A0
	v_mfma_f32_16x16x32_bf16 a[88:91], v[160:163], v[64:67], a[88:91]// 000000004A30: D3B58058 056281A0
	v_mfma_f32_16x16x32_bf16 a[92:95], v[160:163], v[68:71], a[92:95]// 000000004A38: D3B5805C 057289A0
	v_mfma_f32_16x16x32_bf16 a[96:99], v[164:167], v[40:43], a[96:99]// 000000004A40: D3B58060 058251A4
	v_mfma_f32_16x16x32_bf16 a[100:103], v[164:167], v[44:47], a[100:103]// 000000004A48: D3B58064 059259A4
	v_mfma_f32_16x16x32_bf16 a[104:107], v[164:167], v[48:51], a[104:107]// 000000004A50: D3B58068 05A261A4
	s_add_u32 m0, 0x7380, s61                                  // 000000004A58: 807C3DFF 00007380
	buffer_load_dwordx4 v217, s[16:19], 0 offen lds            // 000000004A60: E05D1000 800400D9
	v_mfma_f32_16x16x32_bf16 a[108:111], v[164:167], v[52:55], a[108:111]// 000000004A68: D3B5806C 05B269A4
	s_add_u32 s52, 0x80, s49                                   // 000000004A70: 803431FF 00000080
	s_cmp_lt_u32 s52, s50                                      // 000000004A78: BF0A3234
	s_cselect_b32 s63, s63, 0                                  // 000000004A7C: 853F803F
	v_mfma_f32_16x16x32_bf16 a[112:115], v[164:167], v[56:59], a[112:115]// 000000004A80: D3B58070 05C271A4
	s_add_u32 s16, s63, s16                                    // 000000004A88: 8010103F
	s_addc_u32 s17, 0, s17                                     // 000000004A8C: 82111180
	s_sub_u32 s18, s18, s63                                    // 000000004A90: 80923F12
	v_mfma_f32_16x16x32_bf16 a[116:119], v[164:167], v[60:63], a[116:119]// 000000004A94: D3B58074 05D279A4
	v_mfma_f32_16x16x32_bf16 a[120:123], v[164:167], v[64:67], a[120:123]// 000000004A9C: D3B58078 05E281A4
	v_mfma_f32_16x16x32_bf16 a[124:127], v[164:167], v[68:71], a[124:127]// 000000004AA4: D3B5807C 05F289A4
	s_waitcnt vmcnt(12) lgkmcnt(0)                             // 000000004AAC: BF8C007C
	s_barrier                                                  // 000000004AB0: BF8A0000
	v_mfma_f32_16x16x32_bf16 a[128:131], v[136:139], v[72:75], a[128:131]// 000000004AB4: D3B58080 06029188
	v_mfma_f32_16x16x32_bf16 a[132:135], v[136:139], v[76:79], a[132:135]// 000000004ABC: D3B58084 06129988
	ds_read_b128 v[8:11], v209                                 // 000000004AC4: D9FE0000 080000D1
	v_mfma_f32_16x16x32_bf16 a[136:139], v[136:139], v[80:83], a[136:139]// 000000004ACC: D3B58088 0622A188
	s_add_u32 m0, 0, s60                                       // 000000004AD4: 807C3C80
	buffer_load_dwordx4 v200, s[12:15], 0 offen lds            // 000000004AD8: E05D1000 800300C8
	v_mfma_f32_16x16x32_bf16 a[140:143], v[136:139], v[84:87], a[140:143]// 000000004AE0: D3B5808C 0632A988
	ds_read_b128 v[40:43], v209 offset:64                      // 000000004AE8: D9FE0040 280000D1
	v_mfma_f32_16x16x32_bf16 a[144:147], v[136:139], v[88:91], a[144:147]// 000000004AF0: D3B58090 0642B188
	v_mfma_f32_16x16x32_bf16 a[148:151], v[136:139], v[92:95], a[148:151]// 000000004AF8: D3B58094 0652B988
	ds_read_b128 v[12:15], v209 offset:512                     // 000000004B00: D9FE0200 0C0000D1
	v_mfma_f32_16x16x32_bf16 a[152:155], v[136:139], v[96:99], a[152:155]// 000000004B08: D3B58098 0662C188
	v_mfma_f32_16x16x32_bf16 a[156:159], v[136:139], v[100:103], a[156:159]// 000000004B10: D3B5809C 0672C988
	ds_read_b128 v[44:47], v209 offset:576                     // 000000004B18: D9FE0240 2C0000D1
	v_mfma_f32_16x16x32_bf16 a[160:163], v[140:143], v[72:75], a[160:163]// 000000004B20: D3B580A0 0682918C
	v_mfma_f32_16x16x32_bf16 a[164:167], v[140:143], v[76:79], a[164:167]// 000000004B28: D3B580A4 0692998C
	ds_read_b128 v[16:19], v209 offset:4224                    // 000000004B30: D9FE1080 100000D1
	v_mfma_f32_16x16x32_bf16 a[168:171], v[140:143], v[80:83], a[168:171]// 000000004B38: D3B580A8 06A2A18C
	s_add_u32 m0, 0x1080, s60                                  // 000000004B40: 807C3CFF 00001080
	buffer_load_dwordx4 v201, s[12:15], 0 offen lds            // 000000004B48: E05D1000 800300C9
	v_mfma_f32_16x16x32_bf16 a[172:175], v[140:143], v[84:87], a[172:175]// 000000004B50: D3B580AC 06B2A98C
	ds_read_b128 v[48:51], v209 offset:4288                    // 000000004B58: D9FE10C0 300000D1
	v_mfma_f32_16x16x32_bf16 a[176:179], v[140:143], v[88:91], a[176:179]// 000000004B60: D3B580B0 06C2B18C
	v_mfma_f32_16x16x32_bf16 a[180:183], v[140:143], v[92:95], a[180:183]// 000000004B68: D3B580B4 06D2B98C
	ds_read_b128 v[20:23], v209 offset:4736                    // 000000004B70: D9FE1280 140000D1
	v_mfma_f32_16x16x32_bf16 a[184:187], v[140:143], v[96:99], a[184:187]// 000000004B78: D3B580B8 06E2C18C
	v_mfma_f32_16x16x32_bf16 a[188:191], v[140:143], v[100:103], a[188:191]// 000000004B80: D3B580BC 06F2C98C
	ds_read_b128 v[52:55], v209 offset:4800                    // 000000004B88: D9FE12C0 340000D1
	v_mfma_f32_16x16x32_bf16 a[192:195], v[144:147], v[72:75], a[192:195]// 000000004B90: D3B580C0 07029190
	v_mfma_f32_16x16x32_bf16 a[196:199], v[144:147], v[76:79], a[196:199]// 000000004B98: D3B580C4 07129990
	ds_read_b128 v[24:27], v209 offset:8448                    // 000000004BA0: D9FE2100 180000D1
	v_mfma_f32_16x16x32_bf16 a[200:203], v[144:147], v[80:83], a[200:203]// 000000004BA8: D3B580C8 0722A190
	s_add_u32 m0, 0x2100, s60                                  // 000000004BB0: 807C3CFF 00002100
	buffer_load_dwordx4 v202, s[12:15], 0 offen lds            // 000000004BB8: E05D1000 800300CA
	v_mfma_f32_16x16x32_bf16 a[204:207], v[144:147], v[84:87], a[204:207]// 000000004BC0: D3B580CC 0732A990
	ds_read_b128 v[56:59], v209 offset:8512                    // 000000004BC8: D9FE2140 380000D1
	v_mfma_f32_16x16x32_bf16 a[208:211], v[144:147], v[88:91], a[208:211]// 000000004BD0: D3B580D0 0742B190
	v_mfma_f32_16x16x32_bf16 a[212:215], v[144:147], v[92:95], a[212:215]// 000000004BD8: D3B580D4 0752B990
	ds_read_b128 v[28:31], v209 offset:8960                    // 000000004BE0: D9FE2300 1C0000D1
	v_mfma_f32_16x16x32_bf16 a[216:219], v[144:147], v[96:99], a[216:219]// 000000004BE8: D3B580D8 0762C190
	v_mfma_f32_16x16x32_bf16 a[220:223], v[144:147], v[100:103], a[220:223]// 000000004BF0: D3B580DC 0772C990
	ds_read_b128 v[60:63], v209 offset:9024                    // 000000004BF8: D9FE2340 3C0000D1
	v_mfma_f32_16x16x32_bf16 a[224:227], v[148:151], v[72:75], a[224:227]// 000000004C00: D3B580E0 07829194
	v_mfma_f32_16x16x32_bf16 a[228:231], v[148:151], v[76:79], a[228:231]// 000000004C08: D3B580E4 07929994
	ds_read_b128 v[32:35], v209 offset:12672                   // 000000004C10: D9FE3180 200000D1
	v_mfma_f32_16x16x32_bf16 a[232:235], v[148:151], v[80:83], a[232:235]// 000000004C18: D3B580E8 07A2A194
	s_add_u32 m0, 0x3180, s60                                  // 000000004C20: 807C3CFF 00003180
	buffer_load_dwordx4 v203, s[12:15], 0 offen lds            // 000000004C28: E05D1000 800300CB
	v_mfma_f32_16x16x32_bf16 a[236:239], v[148:151], v[84:87], a[236:239]// 000000004C30: D3B580EC 07B2A994
	ds_read_b128 v[64:67], v209 offset:12736                   // 000000004C38: D9FE31C0 400000D1
	v_mfma_f32_16x16x32_bf16 a[240:243], v[148:151], v[88:91], a[240:243]// 000000004C40: D3B580F0 07C2B194
	v_mfma_f32_16x16x32_bf16 a[244:247], v[148:151], v[92:95], a[244:247]// 000000004C48: D3B580F4 07D2B994
	ds_read_b128 v[36:39], v209 offset:13184                   // 000000004C50: D9FE3380 240000D1
	v_mfma_f32_16x16x32_bf16 a[248:251], v[148:151], v[96:99], a[248:251]// 000000004C58: D3B580F8 07E2C194
	v_mfma_f32_16x16x32_bf16 a[252:255], v[148:151], v[100:103], a[252:255]// 000000004C60: D3B580FC 07F2C994
	ds_read_b128 v[68:71], v209 offset:13248                   // 000000004C68: D9FE33C0 440000D1
	v_mfma_f32_16x16x32_bf16 a[128:131], v[152:155], v[104:107], a[128:131]// 000000004C70: D3B58080 0602D198
	v_mfma_f32_16x16x32_bf16 a[132:135], v[152:155], v[108:111], a[132:135]// 000000004C78: D3B58084 0612D998
	v_mfma_f32_16x16x32_bf16 a[136:139], v[152:155], v[112:115], a[136:139]// 000000004C80: D3B58088 0622E198
	s_add_u32 m0, 0x4200, s60                                  // 000000004C88: 807C3CFF 00004200
	buffer_load_dwordx4 v204, s[12:15], 0 offen lds            // 000000004C90: E05D1000 800300CC
	v_mfma_f32_16x16x32_bf16 a[140:143], v[152:155], v[116:119], a[140:143]// 000000004C98: D3B5808C 0632E998
	v_mfma_f32_16x16x32_bf16 a[144:147], v[152:155], v[120:123], a[144:147]// 000000004CA0: D3B58090 0642F198
	v_mfma_f32_16x16x32_bf16 a[148:151], v[152:155], v[124:127], a[148:151]// 000000004CA8: D3B58094 0652F998
	v_mfma_f32_16x16x32_bf16 a[152:155], v[152:155], v[128:131], a[152:155]// 000000004CB0: D3B58098 06630198
	v_mfma_f32_16x16x32_bf16 a[156:159], v[152:155], v[132:135], a[156:159]// 000000004CB8: D3B5809C 06730998
	v_mfma_f32_16x16x32_bf16 a[160:163], v[156:159], v[104:107], a[160:163]// 000000004CC0: D3B580A0 0682D19C
	v_mfma_f32_16x16x32_bf16 a[164:167], v[156:159], v[108:111], a[164:167]// 000000004CC8: D3B580A4 0692D99C
	v_mfma_f32_16x16x32_bf16 a[168:171], v[156:159], v[112:115], a[168:171]// 000000004CD0: D3B580A8 06A2E19C
	s_add_u32 m0, 0x5280, s60                                  // 000000004CD8: 807C3CFF 00005280
	buffer_load_dwordx4 v205, s[12:15], 0 offen lds            // 000000004CE0: E05D1000 800300CD
	v_mfma_f32_16x16x32_bf16 a[172:175], v[156:159], v[116:119], a[172:175]// 000000004CE8: D3B580AC 06B2E99C
	v_mfma_f32_16x16x32_bf16 a[176:179], v[156:159], v[120:123], a[176:179]// 000000004CF0: D3B580B0 06C2F19C
	v_mfma_f32_16x16x32_bf16 a[180:183], v[156:159], v[124:127], a[180:183]// 000000004CF8: D3B580B4 06D2F99C
	v_mfma_f32_16x16x32_bf16 a[184:187], v[156:159], v[128:131], a[184:187]// 000000004D00: D3B580B8 06E3019C
	v_mfma_f32_16x16x32_bf16 a[188:191], v[156:159], v[132:135], a[188:191]// 000000004D08: D3B580BC 06F3099C
	v_mfma_f32_16x16x32_bf16 a[192:195], v[160:163], v[104:107], a[192:195]// 000000004D10: D3B580C0 0702D1A0
	v_mfma_f32_16x16x32_bf16 a[196:199], v[160:163], v[108:111], a[196:199]// 000000004D18: D3B580C4 0712D9A0
	v_mfma_f32_16x16x32_bf16 a[200:203], v[160:163], v[112:115], a[200:203]// 000000004D20: D3B580C8 0722E1A0
	s_add_u32 m0, 0x6300, s60                                  // 000000004D28: 807C3CFF 00006300
	buffer_load_dwordx4 v206, s[12:15], 0 offen lds            // 000000004D30: E05D1000 800300CE
	v_mfma_f32_16x16x32_bf16 a[204:207], v[160:163], v[116:119], a[204:207]// 000000004D38: D3B580CC 0732E9A0
	v_mfma_f32_16x16x32_bf16 a[208:211], v[160:163], v[120:123], a[208:211]// 000000004D40: D3B580D0 0742F1A0
	v_mfma_f32_16x16x32_bf16 a[212:215], v[160:163], v[124:127], a[212:215]// 000000004D48: D3B580D4 0752F9A0
	v_mfma_f32_16x16x32_bf16 a[216:219], v[160:163], v[128:131], a[216:219]// 000000004D50: D3B580D8 076301A0
	v_mfma_f32_16x16x32_bf16 a[220:223], v[160:163], v[132:135], a[220:223]// 000000004D58: D3B580DC 077309A0
	v_mfma_f32_16x16x32_bf16 a[224:227], v[164:167], v[104:107], a[224:227]// 000000004D60: D3B580E0 0782D1A4
	v_mfma_f32_16x16x32_bf16 a[228:231], v[164:167], v[108:111], a[228:231]// 000000004D68: D3B580E4 0792D9A4
	v_mfma_f32_16x16x32_bf16 a[232:235], v[164:167], v[112:115], a[232:235]// 000000004D70: D3B580E8 07A2E1A4
	s_add_u32 m0, 0x7380, s60                                  // 000000004D78: 807C3CFF 00007380
	buffer_load_dwordx4 v207, s[12:15], 0 offen lds            // 000000004D80: E05D1000 800300CF
	v_mfma_f32_16x16x32_bf16 a[236:239], v[164:167], v[116:119], a[236:239]// 000000004D88: D3B580EC 07B2E9A4
	s_add_u32 s51, 0xc0, s49                                   // 000000004D90: 803331FF 000000C0
	s_cmp_lt_u32 s51, s50                                      // 000000004D98: BF0A3233
	s_cselect_b32 s62, s62, 0                                  // 000000004D9C: 853E803E
	v_mfma_f32_16x16x32_bf16 a[240:243], v[164:167], v[120:123], a[240:243]// 000000004DA0: D3B580F0 07C2F1A4
	s_add_u32 s12, s62, s12                                    // 000000004DA8: 800C0C3E
	s_addc_u32 s13, 0, s13                                     // 000000004DAC: 820D0D80
	s_sub_u32 s14, s14, s62                                    // 000000004DB0: 808E3E0E
	v_mfma_f32_16x16x32_bf16 a[244:247], v[164:167], v[124:127], a[244:247]// 000000004DB4: D3B580F4 07D2F9A4
	s_addk_i32 s49, 0x40                                       // 000000004DBC: B7310040
	s_cmp_lt_i32 s49, s50                                      // 000000004DC0: BF043231
	v_mfma_f32_16x16x32_bf16 a[248:251], v[164:167], v[128:131], a[248:251]// 000000004DC4: D3B580F8 07E301A4
	v_mfma_f32_16x16x32_bf16 a[252:255], v[164:167], v[132:135], a[252:255]// 000000004DCC: D3B580FC 07F309A4
	s_cbranch_scc0 label_0AE3                                  // 000000004DD4: BF8401A6
	s_waitcnt vmcnt(8) lgkmcnt(0)                              // 000000004DD8: BF8C0078
	s_barrier                                                  // 000000004DDC: BF8A0000
	v_mfma_f32_16x16x32_bf16 a[0:3], v[168:171], v[8:11], a[0:3]// 000000004DE0: D3B58000 040211A8
	v_mfma_f32_16x16x32_bf16 a[4:7], v[168:171], v[12:15], a[4:7]// 000000004DE8: D3B58004 041219A8
	ds_read_b128 v[72:75], v209 offset:16896                   // 000000004DF0: D9FE4200 480000D1
	v_mfma_f32_16x16x32_bf16 a[8:11], v[168:171], v[16:19], a[8:11]// 000000004DF8: D3B58008 042221A8
	s_add_u32 m0, 0x8400, s61                                  // 000000004E00: 807C3DFF 00008400
	buffer_load_dwordx4 v210, s[16:19], 0 offen lds            // 000000004E08: E05D1000 800400D2
	v_mfma_f32_16x16x32_bf16 a[12:15], v[168:171], v[20:23], a[12:15]// 000000004E10: D3B5800C 043229A8
	ds_read_b128 v[104:107], v209 offset:16960                 // 000000004E18: D9FE4240 680000D1
	v_mfma_f32_16x16x32_bf16 a[16:19], v[168:171], v[24:27], a[16:19]// 000000004E20: D3B58010 044231A8
	v_mfma_f32_16x16x32_bf16 a[20:23], v[168:171], v[28:31], a[20:23]// 000000004E28: D3B58014 045239A8
	ds_read_b128 v[76:79], v209 offset:17408                   // 000000004E30: D9FE4400 4C0000D1
	v_mfma_f32_16x16x32_bf16 a[24:27], v[168:171], v[32:35], a[24:27]// 000000004E38: D3B58018 046241A8
	v_mfma_f32_16x16x32_bf16 a[28:31], v[168:171], v[36:39], a[28:31]// 000000004E40: D3B5801C 047249A8
	ds_read_b128 v[108:111], v209 offset:17472                 // 000000004E48: D9FE4440 6C0000D1
	v_mfma_f32_16x16x32_bf16 a[32:35], v[172:175], v[8:11], a[32:35]// 000000004E50: D3B58020 048211AC
	v_mfma_f32_16x16x32_bf16 a[36:39], v[172:175], v[12:15], a[36:39]// 000000004E58: D3B58024 049219AC
	ds_read_b128 v[80:83], v209 offset:21120                   // 000000004E60: D9FE5280 500000D1
	v_mfma_f32_16x16x32_bf16 a[40:43], v[172:175], v[16:19], a[40:43]// 000000004E68: D3B58028 04A221AC
	s_add_u32 m0, 0x9480, s61                                  // 000000004E70: 807C3DFF 00009480
	buffer_load_dwordx4 v211, s[16:19], 0 offen lds            // 000000004E78: E05D1000 800400D3
	v_mfma_f32_16x16x32_bf16 a[44:47], v[172:175], v[20:23], a[44:47]// 000000004E80: D3B5802C 04B229AC
	ds_read_b128 v[112:115], v209 offset:21184                 // 000000004E88: D9FE52C0 700000D1
	v_mfma_f32_16x16x32_bf16 a[48:51], v[172:175], v[24:27], a[48:51]// 000000004E90: D3B58030 04C231AC
	v_mfma_f32_16x16x32_bf16 a[52:55], v[172:175], v[28:31], a[52:55]// 000000004E98: D3B58034 04D239AC
	ds_read_b128 v[84:87], v209 offset:21632                   // 000000004EA0: D9FE5480 540000D1
	v_mfma_f32_16x16x32_bf16 a[56:59], v[172:175], v[32:35], a[56:59]// 000000004EA8: D3B58038 04E241AC
	v_mfma_f32_16x16x32_bf16 a[60:63], v[172:175], v[36:39], a[60:63]// 000000004EB0: D3B5803C 04F249AC
	ds_read_b128 v[116:119], v209 offset:21696                 // 000000004EB8: D9FE54C0 740000D1
	v_mfma_f32_16x16x32_bf16 a[64:67], v[176:179], v[8:11], a[64:67]// 000000004EC0: D3B58040 050211B0
	v_mfma_f32_16x16x32_bf16 a[68:71], v[176:179], v[12:15], a[68:71]// 000000004EC8: D3B58044 051219B0
	ds_read_b128 v[88:91], v209 offset:25344                   // 000000004ED0: D9FE6300 580000D1
	v_mfma_f32_16x16x32_bf16 a[72:75], v[176:179], v[16:19], a[72:75]// 000000004ED8: D3B58048 052221B0
	s_add_u32 m0, 0xa500, s61                                  // 000000004EE0: 807C3DFF 0000A500
	buffer_load_dwordx4 v212, s[16:19], 0 offen lds            // 000000004EE8: E05D1000 800400D4
	v_mfma_f32_16x16x32_bf16 a[76:79], v[176:179], v[20:23], a[76:79]// 000000004EF0: D3B5804C 053229B0
	ds_read_b128 v[120:123], v209 offset:25408                 // 000000004EF8: D9FE6340 780000D1
	v_mfma_f32_16x16x32_bf16 a[80:83], v[176:179], v[24:27], a[80:83]// 000000004F00: D3B58050 054231B0
	v_mfma_f32_16x16x32_bf16 a[84:87], v[176:179], v[28:31], a[84:87]// 000000004F08: D3B58054 055239B0
	ds_read_b128 v[92:95], v209 offset:25856                   // 000000004F10: D9FE6500 5C0000D1
	v_mfma_f32_16x16x32_bf16 a[88:91], v[176:179], v[32:35], a[88:91]// 000000004F18: D3B58058 056241B0
	v_mfma_f32_16x16x32_bf16 a[92:95], v[176:179], v[36:39], a[92:95]// 000000004F20: D3B5805C 057249B0
	ds_read_b128 v[124:127], v209 offset:25920                 // 000000004F28: D9FE6540 7C0000D1
	v_mfma_f32_16x16x32_bf16 a[96:99], v[180:183], v[8:11], a[96:99]// 000000004F30: D3B58060 058211B4
	v_mfma_f32_16x16x32_bf16 a[100:103], v[180:183], v[12:15], a[100:103]// 000000004F38: D3B58064 059219B4
	ds_read_b128 v[96:99], v209 offset:29568                   // 000000004F40: D9FE7380 600000D1
	v_mfma_f32_16x16x32_bf16 a[104:107], v[180:183], v[16:19], a[104:107]// 000000004F48: D3B58068 05A221B4
	s_add_u32 m0, 0xb580, s61                                  // 000000004F50: 807C3DFF 0000B580
	buffer_load_dwordx4 v213, s[16:19], 0 offen lds            // 000000004F58: E05D1000 800400D5
	v_mfma_f32_16x16x32_bf16 a[108:111], v[180:183], v[20:23], a[108:111]// 000000004F60: D3B5806C 05B229B4
	ds_read_b128 v[128:131], v209 offset:29632                 // 000000004F68: D9FE73C0 800000D1
	v_mfma_f32_16x16x32_bf16 a[112:115], v[180:183], v[24:27], a[112:115]// 000000004F70: D3B58070 05C231B4
	v_mfma_f32_16x16x32_bf16 a[116:119], v[180:183], v[28:31], a[116:119]// 000000004F78: D3B58074 05D239B4
	ds_read_b128 v[100:103], v209 offset:30080                 // 000000004F80: D9FE7580 640000D1
	v_mfma_f32_16x16x32_bf16 a[120:123], v[180:183], v[32:35], a[120:123]// 000000004F88: D3B58078 05E241B4
	v_mfma_f32_16x16x32_bf16 a[124:127], v[180:183], v[36:39], a[124:127]// 000000004F90: D3B5807C 05F249B4
	ds_read_b128 v[132:135], v209 offset:30144                 // 000000004F98: D9FE75C0 840000D1
	v_mfma_f32_16x16x32_bf16 a[0:3], v[184:187], v[40:43], a[0:3]// 000000004FA0: D3B58000 040251B8
	v_mfma_f32_16x16x32_bf16 a[4:7], v[184:187], v[44:47], a[4:7]// 000000004FA8: D3B58004 041259B8
	ds_read_b128 v[136:139], v218                              // 000000004FB0: D9FE0000 880000DA
	v_mfma_f32_16x16x32_bf16 a[8:11], v[184:187], v[48:51], a[8:11]// 000000004FB8: D3B58008 042261B8
	s_add_u32 m0, 0xc600, s61                                  // 000000004FC0: 807C3DFF 0000C600
	buffer_load_dwordx4 v214, s[16:19], 0 offen lds            // 000000004FC8: E05D1000 800400D6
	v_mfma_f32_16x16x32_bf16 a[12:15], v[184:187], v[52:55], a[12:15]// 000000004FD0: D3B5800C 043269B8
	ds_read_b128 v[152:155], v218 offset:64                    // 000000004FD8: D9FE0040 980000DA
	v_mfma_f32_16x16x32_bf16 a[16:19], v[184:187], v[56:59], a[16:19]// 000000004FE0: D3B58010 044271B8
	v_mfma_f32_16x16x32_bf16 a[20:23], v[184:187], v[60:63], a[20:23]// 000000004FE8: D3B58014 045279B8
	ds_read_b128 v[140:143], v218 offset:512                   // 000000004FF0: D9FE0200 8C0000DA
	v_mfma_f32_16x16x32_bf16 a[24:27], v[184:187], v[64:67], a[24:27]// 000000004FF8: D3B58018 046281B8
	v_mfma_f32_16x16x32_bf16 a[28:31], v[184:187], v[68:71], a[28:31]// 000000005000: D3B5801C 047289B8
	ds_read_b128 v[156:159], v218 offset:576                   // 000000005008: D9FE0240 9C0000DA
	v_mfma_f32_16x16x32_bf16 a[32:35], v[188:191], v[40:43], a[32:35]// 000000005010: D3B58020 048251BC
	v_mfma_f32_16x16x32_bf16 a[36:39], v[188:191], v[44:47], a[36:39]// 000000005018: D3B58024 049259BC
	ds_read_b128 v[144:147], v218 offset:4224                  // 000000005020: D9FE1080 900000DA
	v_mfma_f32_16x16x32_bf16 a[40:43], v[188:191], v[48:51], a[40:43]// 000000005028: D3B58028 04A261BC
	s_add_u32 m0, 0xd680, s61                                  // 000000005030: 807C3DFF 0000D680
	buffer_load_dwordx4 v215, s[16:19], 0 offen lds            // 000000005038: E05D1000 800400D7
	v_mfma_f32_16x16x32_bf16 a[44:47], v[188:191], v[52:55], a[44:47]// 000000005040: D3B5802C 04B269BC
	ds_read_b128 v[160:163], v218 offset:4288                  // 000000005048: D9FE10C0 A00000DA
	v_mfma_f32_16x16x32_bf16 a[48:51], v[188:191], v[56:59], a[48:51]// 000000005050: D3B58030 04C271BC
	v_mfma_f32_16x16x32_bf16 a[52:55], v[188:191], v[60:63], a[52:55]// 000000005058: D3B58034 04D279BC
	ds_read_b128 v[148:151], v218 offset:4736                  // 000000005060: D9FE1280 940000DA
	v_mfma_f32_16x16x32_bf16 a[56:59], v[188:191], v[64:67], a[56:59]// 000000005068: D3B58038 04E281BC
	v_mfma_f32_16x16x32_bf16 a[60:63], v[188:191], v[68:71], a[60:63]// 000000005070: D3B5803C 04F289BC
	ds_read_b128 v[164:167], v218 offset:4800                  // 000000005078: D9FE12C0 A40000DA
	v_mfma_f32_16x16x32_bf16 a[64:67], v[192:195], v[40:43], a[64:67]// 000000005080: D3B58040 050251C0
	v_mfma_f32_16x16x32_bf16 a[68:71], v[192:195], v[44:47], a[68:71]// 000000005088: D3B58044 051259C0
	v_mfma_f32_16x16x32_bf16 a[72:75], v[192:195], v[48:51], a[72:75]// 000000005090: D3B58048 052261C0
	s_add_u32 m0, 0xe700, s61                                  // 000000005098: 807C3DFF 0000E700
	buffer_load_dwordx4 v216, s[16:19], 0 offen lds            // 0000000050A0: E05D1000 800400D8
	v_mfma_f32_16x16x32_bf16 a[76:79], v[192:195], v[52:55], a[76:79]// 0000000050A8: D3B5804C 053269C0
	v_mfma_f32_16x16x32_bf16 a[80:83], v[192:195], v[56:59], a[80:83]// 0000000050B0: D3B58050 054271C0
	v_mfma_f32_16x16x32_bf16 a[84:87], v[192:195], v[60:63], a[84:87]// 0000000050B8: D3B58054 055279C0
	v_mfma_f32_16x16x32_bf16 a[88:91], v[192:195], v[64:67], a[88:91]// 0000000050C0: D3B58058 056281C0
	v_mfma_f32_16x16x32_bf16 a[92:95], v[192:195], v[68:71], a[92:95]// 0000000050C8: D3B5805C 057289C0
	v_mfma_f32_16x16x32_bf16 a[96:99], v[196:199], v[40:43], a[96:99]// 0000000050D0: D3B58060 058251C4
	v_mfma_f32_16x16x32_bf16 a[100:103], v[196:199], v[44:47], a[100:103]// 0000000050D8: D3B58064 059259C4
	v_mfma_f32_16x16x32_bf16 a[104:107], v[196:199], v[48:51], a[104:107]// 0000000050E0: D3B58068 05A261C4
	s_add_u32 m0, 0xf780, s61                                  // 0000000050E8: 807C3DFF 0000F780
	buffer_load_dwordx4 v217, s[16:19], 0 offen lds            // 0000000050F0: E05D1000 800400D9
	v_mfma_f32_16x16x32_bf16 a[108:111], v[196:199], v[52:55], a[108:111]// 0000000050F8: D3B5806C 05B269C4
	s_add_u32 s52, 0x80, s49                                   // 000000005100: 803431FF 00000080
	s_cmp_lt_u32 s52, s50                                      // 000000005108: BF0A3234
	s_cselect_b32 s63, s63, 0                                  // 00000000510C: 853F803F
	v_mfma_f32_16x16x32_bf16 a[112:115], v[196:199], v[56:59], a[112:115]// 000000005110: D3B58070 05C271C4
	s_add_u32 s16, s63, s16                                    // 000000005118: 8010103F
	s_addc_u32 s17, 0, s17                                     // 00000000511C: 82111180
	s_sub_u32 s18, s18, s63                                    // 000000005120: 80923F12
	v_mfma_f32_16x16x32_bf16 a[116:119], v[196:199], v[60:63], a[116:119]// 000000005124: D3B58074 05D279C4
	v_mfma_f32_16x16x32_bf16 a[120:123], v[196:199], v[64:67], a[120:123]// 00000000512C: D3B58078 05E281C4
	v_mfma_f32_16x16x32_bf16 a[124:127], v[196:199], v[68:71], a[124:127]// 000000005134: D3B5807C 05F289C4
	s_waitcnt vmcnt(12) lgkmcnt(0)                             // 00000000513C: BF8C007C
	s_barrier                                                  // 000000005140: BF8A0000
	v_mfma_f32_16x16x32_bf16 a[128:131], v[168:171], v[72:75], a[128:131]// 000000005144: D3B58080 060291A8
	v_mfma_f32_16x16x32_bf16 a[132:135], v[168:171], v[76:79], a[132:135]// 00000000514C: D3B58084 061299A8
	ds_read_b128 v[8:11], v208                                 // 000000005154: D9FE0000 080000D0
	v_mfma_f32_16x16x32_bf16 a[136:139], v[168:171], v[80:83], a[136:139]// 00000000515C: D3B58088 0622A1A8
	s_add_u32 m0, 0x8400, s60                                  // 000000005164: 807C3CFF 00008400
	buffer_load_dwordx4 v200, s[12:15], 0 offen lds            // 00000000516C: E05D1000 800300C8
	v_mfma_f32_16x16x32_bf16 a[140:143], v[168:171], v[84:87], a[140:143]// 000000005174: D3B5808C 0632A9A8
	ds_read_b128 v[40:43], v208 offset:64                      // 00000000517C: D9FE0040 280000D0
	v_mfma_f32_16x16x32_bf16 a[144:147], v[168:171], v[88:91], a[144:147]// 000000005184: D3B58090 0642B1A8
	v_mfma_f32_16x16x32_bf16 a[148:151], v[168:171], v[92:95], a[148:151]// 00000000518C: D3B58094 0652B9A8
	ds_read_b128 v[12:15], v208 offset:512                     // 000000005194: D9FE0200 0C0000D0
	v_mfma_f32_16x16x32_bf16 a[152:155], v[168:171], v[96:99], a[152:155]// 00000000519C: D3B58098 0662C1A8
	v_mfma_f32_16x16x32_bf16 a[156:159], v[168:171], v[100:103], a[156:159]// 0000000051A4: D3B5809C 0672C9A8
	ds_read_b128 v[44:47], v208 offset:576                     // 0000000051AC: D9FE0240 2C0000D0
	v_mfma_f32_16x16x32_bf16 a[160:163], v[172:175], v[72:75], a[160:163]// 0000000051B4: D3B580A0 068291AC
	v_mfma_f32_16x16x32_bf16 a[164:167], v[172:175], v[76:79], a[164:167]// 0000000051BC: D3B580A4 069299AC
	ds_read_b128 v[16:19], v208 offset:4224                    // 0000000051C4: D9FE1080 100000D0
	v_mfma_f32_16x16x32_bf16 a[168:171], v[172:175], v[80:83], a[168:171]// 0000000051CC: D3B580A8 06A2A1AC
	s_add_u32 m0, 0x9480, s60                                  // 0000000051D4: 807C3CFF 00009480
	buffer_load_dwordx4 v201, s[12:15], 0 offen lds            // 0000000051DC: E05D1000 800300C9
	v_mfma_f32_16x16x32_bf16 a[172:175], v[172:175], v[84:87], a[172:175]// 0000000051E4: D3B580AC 06B2A9AC
	ds_read_b128 v[48:51], v208 offset:4288                    // 0000000051EC: D9FE10C0 300000D0
	v_mfma_f32_16x16x32_bf16 a[176:179], v[172:175], v[88:91], a[176:179]// 0000000051F4: D3B580B0 06C2B1AC
	v_mfma_f32_16x16x32_bf16 a[180:183], v[172:175], v[92:95], a[180:183]// 0000000051FC: D3B580B4 06D2B9AC
	ds_read_b128 v[20:23], v208 offset:4736                    // 000000005204: D9FE1280 140000D0
	v_mfma_f32_16x16x32_bf16 a[184:187], v[172:175], v[96:99], a[184:187]// 00000000520C: D3B580B8 06E2C1AC
	v_mfma_f32_16x16x32_bf16 a[188:191], v[172:175], v[100:103], a[188:191]// 000000005214: D3B580BC 06F2C9AC
	ds_read_b128 v[52:55], v208 offset:4800                    // 00000000521C: D9FE12C0 340000D0
	v_mfma_f32_16x16x32_bf16 a[192:195], v[176:179], v[72:75], a[192:195]// 000000005224: D3B580C0 070291B0
	v_mfma_f32_16x16x32_bf16 a[196:199], v[176:179], v[76:79], a[196:199]// 00000000522C: D3B580C4 071299B0
	ds_read_b128 v[24:27], v208 offset:8448                    // 000000005234: D9FE2100 180000D0
	v_mfma_f32_16x16x32_bf16 a[200:203], v[176:179], v[80:83], a[200:203]// 00000000523C: D3B580C8 0722A1B0
	s_add_u32 m0, 0xa500, s60                                  // 000000005244: 807C3CFF 0000A500
	buffer_load_dwordx4 v202, s[12:15], 0 offen lds            // 00000000524C: E05D1000 800300CA
	v_mfma_f32_16x16x32_bf16 a[204:207], v[176:179], v[84:87], a[204:207]// 000000005254: D3B580CC 0732A9B0
	ds_read_b128 v[56:59], v208 offset:8512                    // 00000000525C: D9FE2140 380000D0
	v_mfma_f32_16x16x32_bf16 a[208:211], v[176:179], v[88:91], a[208:211]// 000000005264: D3B580D0 0742B1B0
	v_mfma_f32_16x16x32_bf16 a[212:215], v[176:179], v[92:95], a[212:215]// 00000000526C: D3B580D4 0752B9B0
	ds_read_b128 v[28:31], v208 offset:8960                    // 000000005274: D9FE2300 1C0000D0
	v_mfma_f32_16x16x32_bf16 a[216:219], v[176:179], v[96:99], a[216:219]// 00000000527C: D3B580D8 0762C1B0
	v_mfma_f32_16x16x32_bf16 a[220:223], v[176:179], v[100:103], a[220:223]// 000000005284: D3B580DC 0772C9B0
	ds_read_b128 v[60:63], v208 offset:9024                    // 00000000528C: D9FE2340 3C0000D0
	v_mfma_f32_16x16x32_bf16 a[224:227], v[180:183], v[72:75], a[224:227]// 000000005294: D3B580E0 078291B4
	v_mfma_f32_16x16x32_bf16 a[228:231], v[180:183], v[76:79], a[228:231]// 00000000529C: D3B580E4 079299B4
	ds_read_b128 v[32:35], v208 offset:12672                   // 0000000052A4: D9FE3180 200000D0
	v_mfma_f32_16x16x32_bf16 a[232:235], v[180:183], v[80:83], a[232:235]// 0000000052AC: D3B580E8 07A2A1B4
	s_add_u32 m0, 0xb580, s60                                  // 0000000052B4: 807C3CFF 0000B580
	buffer_load_dwordx4 v203, s[12:15], 0 offen lds            // 0000000052BC: E05D1000 800300CB
	v_mfma_f32_16x16x32_bf16 a[236:239], v[180:183], v[84:87], a[236:239]// 0000000052C4: D3B580EC 07B2A9B4
	ds_read_b128 v[64:67], v208 offset:12736                   // 0000000052CC: D9FE31C0 400000D0
	v_mfma_f32_16x16x32_bf16 a[240:243], v[180:183], v[88:91], a[240:243]// 0000000052D4: D3B580F0 07C2B1B4
	v_mfma_f32_16x16x32_bf16 a[244:247], v[180:183], v[92:95], a[244:247]// 0000000052DC: D3B580F4 07D2B9B4
	ds_read_b128 v[36:39], v208 offset:13184                   // 0000000052E4: D9FE3380 240000D0
	v_mfma_f32_16x16x32_bf16 a[248:251], v[180:183], v[96:99], a[248:251]// 0000000052EC: D3B580F8 07E2C1B4
	v_mfma_f32_16x16x32_bf16 a[252:255], v[180:183], v[100:103], a[252:255]// 0000000052F4: D3B580FC 07F2C9B4
	ds_read_b128 v[68:71], v208 offset:13248                   // 0000000052FC: D9FE33C0 440000D0
	v_mfma_f32_16x16x32_bf16 a[128:131], v[184:187], v[104:107], a[128:131]// 000000005304: D3B58080 0602D1B8
	v_mfma_f32_16x16x32_bf16 a[132:135], v[184:187], v[108:111], a[132:135]// 00000000530C: D3B58084 0612D9B8
	v_mfma_f32_16x16x32_bf16 a[136:139], v[184:187], v[112:115], a[136:139]// 000000005314: D3B58088 0622E1B8
	s_add_u32 m0, 0xc600, s60                                  // 00000000531C: 807C3CFF 0000C600
	buffer_load_dwordx4 v204, s[12:15], 0 offen lds            // 000000005324: E05D1000 800300CC
	v_mfma_f32_16x16x32_bf16 a[140:143], v[184:187], v[116:119], a[140:143]// 00000000532C: D3B5808C 0632E9B8
	v_mfma_f32_16x16x32_bf16 a[144:147], v[184:187], v[120:123], a[144:147]// 000000005334: D3B58090 0642F1B8
	v_mfma_f32_16x16x32_bf16 a[148:151], v[184:187], v[124:127], a[148:151]// 00000000533C: D3B58094 0652F9B8
	v_mfma_f32_16x16x32_bf16 a[152:155], v[184:187], v[128:131], a[152:155]// 000000005344: D3B58098 066301B8
	v_mfma_f32_16x16x32_bf16 a[156:159], v[184:187], v[132:135], a[156:159]// 00000000534C: D3B5809C 067309B8
	v_mfma_f32_16x16x32_bf16 a[160:163], v[188:191], v[104:107], a[160:163]// 000000005354: D3B580A0 0682D1BC
	v_mfma_f32_16x16x32_bf16 a[164:167], v[188:191], v[108:111], a[164:167]// 00000000535C: D3B580A4 0692D9BC
	v_mfma_f32_16x16x32_bf16 a[168:171], v[188:191], v[112:115], a[168:171]// 000000005364: D3B580A8 06A2E1BC
	s_add_u32 m0, 0xd680, s60                                  // 00000000536C: 807C3CFF 0000D680
	buffer_load_dwordx4 v205, s[12:15], 0 offen lds            // 000000005374: E05D1000 800300CD
	v_mfma_f32_16x16x32_bf16 a[172:175], v[188:191], v[116:119], a[172:175]// 00000000537C: D3B580AC 06B2E9BC
	v_mfma_f32_16x16x32_bf16 a[176:179], v[188:191], v[120:123], a[176:179]// 000000005384: D3B580B0 06C2F1BC
	v_mfma_f32_16x16x32_bf16 a[180:183], v[188:191], v[124:127], a[180:183]// 00000000538C: D3B580B4 06D2F9BC
	v_mfma_f32_16x16x32_bf16 a[184:187], v[188:191], v[128:131], a[184:187]// 000000005394: D3B580B8 06E301BC
	v_mfma_f32_16x16x32_bf16 a[188:191], v[188:191], v[132:135], a[188:191]// 00000000539C: D3B580BC 06F309BC
	v_mfma_f32_16x16x32_bf16 a[192:195], v[192:195], v[104:107], a[192:195]// 0000000053A4: D3B580C0 0702D1C0
	v_mfma_f32_16x16x32_bf16 a[196:199], v[192:195], v[108:111], a[196:199]// 0000000053AC: D3B580C4 0712D9C0
	v_mfma_f32_16x16x32_bf16 a[200:203], v[192:195], v[112:115], a[200:203]// 0000000053B4: D3B580C8 0722E1C0
	s_add_u32 m0, 0xe700, s60                                  // 0000000053BC: 807C3CFF 0000E700
	buffer_load_dwordx4 v206, s[12:15], 0 offen lds            // 0000000053C4: E05D1000 800300CE
	v_mfma_f32_16x16x32_bf16 a[204:207], v[192:195], v[116:119], a[204:207]// 0000000053CC: D3B580CC 0732E9C0
	v_mfma_f32_16x16x32_bf16 a[208:211], v[192:195], v[120:123], a[208:211]// 0000000053D4: D3B580D0 0742F1C0
	v_mfma_f32_16x16x32_bf16 a[212:215], v[192:195], v[124:127], a[212:215]// 0000000053DC: D3B580D4 0752F9C0
	v_mfma_f32_16x16x32_bf16 a[216:219], v[192:195], v[128:131], a[216:219]// 0000000053E4: D3B580D8 076301C0
	v_mfma_f32_16x16x32_bf16 a[220:223], v[192:195], v[132:135], a[220:223]// 0000000053EC: D3B580DC 077309C0
	v_mfma_f32_16x16x32_bf16 a[224:227], v[196:199], v[104:107], a[224:227]// 0000000053F4: D3B580E0 0782D1C4
	v_mfma_f32_16x16x32_bf16 a[228:231], v[196:199], v[108:111], a[228:231]// 0000000053FC: D3B580E4 0792D9C4
	v_mfma_f32_16x16x32_bf16 a[232:235], v[196:199], v[112:115], a[232:235]// 000000005404: D3B580E8 07A2E1C4
	s_add_u32 m0, 0xf780, s60                                  // 00000000540C: 807C3CFF 0000F780
	buffer_load_dwordx4 v207, s[12:15], 0 offen lds            // 000000005414: E05D1000 800300CF
	v_mfma_f32_16x16x32_bf16 a[236:239], v[196:199], v[116:119], a[236:239]// 00000000541C: D3B580EC 07B2E9C4
	s_add_u32 s51, 0xc0, s49                                   // 000000005424: 803331FF 000000C0
	s_cmp_lt_u32 s51, s50                                      // 00000000542C: BF0A3233
	s_cselect_b32 s62, s62, 0                                  // 000000005430: 853E803E
	v_mfma_f32_16x16x32_bf16 a[240:243], v[196:199], v[120:123], a[240:243]// 000000005434: D3B580F0 07C2F1C4
	s_add_u32 s12, s62, s12                                    // 00000000543C: 800C0C3E
	s_addc_u32 s13, 0, s13                                     // 000000005440: 820D0D80
	s_sub_u32 s14, s14, s62                                    // 000000005444: 808E3E0E
	v_mfma_f32_16x16x32_bf16 a[244:247], v[196:199], v[124:127], a[244:247]// 000000005448: D3B580F4 07D2F9C4
	s_addk_i32 s49, 0x40                                       // 000000005450: B7310040
	s_cmp_lt_i32 s49, s50                                      // 000000005454: BF043231
	v_mfma_f32_16x16x32_bf16 a[248:251], v[196:199], v[128:131], a[248:251]// 000000005458: D3B580F8 07E301C4
	v_mfma_f32_16x16x32_bf16 a[252:255], v[196:199], v[132:135], a[252:255]// 000000005460: D3B580FC 07F309C4
	s_cbranch_scc0 label_0AE3                                  // 000000005468: BF840001
	s_branch label_079A                                        // 00000000546C: BF82FCB7

0000000000005470 <label_0AE3>:
	s_mov_b32 s49, 0                                           // 000000005470: BEB10080
	s_mul_i32 s50, 16, s47                                     // 000000005474: 92322F90
	s_add_u32 s52, s43, 15                                     // 000000005478: 80348F2B
	s_lshr_b32 s52, s52, 4                                     // 00000000547C: 8F348434
	s_sub_u32 s50, s52, s50                                    // 000000005480: 80B23234
	s_waitcnt vmcnt(0) lgkmcnt(0)                              // 000000005484: BF8C0070
	s_barrier                                                  // 000000005488: BF8A0000
	s_cmp_lt_u32 s59, 1                                        // 00000000548C: BF0A813B
	s_cbranch_scc0 label_0E2D                                  // 000000005490: BF840341
	v_accvgpr_read_b32 v8, a0                                  // 000000005494: D3D84008 18000100
	v_accvgpr_read_b32 v9, a1                                  // 00000000549C: D3D84009 18000101
	v_accvgpr_read_b32 v10, a2                                 // 0000000054A4: D3D8400A 18000102
	v_accvgpr_read_b32 v11, a3                                 // 0000000054AC: D3D8400B 18000103
	buffer_store_dwordx4 v[8:11], v220, s[4:7], 0 offen        // 0000000054B4: E07C1000 800108DC
	v_add_i32 v220, v220, 64                                   // 0000000054BC: D29C00DC 000181DC
	s_waitcnt vmcnt(0) expcnt(0) lgkmcnt(0)                    // 0000000054C4: BF8C0000
	v_accvgpr_read_b32 v8, a32                                 // 0000000054C8: D3D84008 18000120
	v_accvgpr_read_b32 v9, a33                                 // 0000000054D0: D3D84009 18000121
	v_accvgpr_read_b32 v10, a34                                // 0000000054D8: D3D8400A 18000122
	v_accvgpr_read_b32 v11, a35                                // 0000000054E0: D3D8400B 18000123
	buffer_store_dwordx4 v[8:11], v220, s[4:7], 0 offen        // 0000000054E8: E07C1000 800108DC
	v_add_i32 v220, v220, 64                                   // 0000000054F0: D29C00DC 000181DC
	s_waitcnt vmcnt(0) expcnt(0) lgkmcnt(0)                    // 0000000054F8: BF8C0000
	v_accvgpr_read_b32 v8, a64                                 // 0000000054FC: D3D84008 18000140
	v_accvgpr_read_b32 v9, a65                                 // 000000005504: D3D84009 18000141
	v_accvgpr_read_b32 v10, a66                                // 00000000550C: D3D8400A 18000142
	v_accvgpr_read_b32 v11, a67                                // 000000005514: D3D8400B 18000143
	buffer_store_dwordx4 v[8:11], v220, s[4:7], 0 offen        // 00000000551C: E07C1000 800108DC
	v_add_i32 v220, v220, 64                                   // 000000005524: D29C00DC 000181DC
	s_waitcnt vmcnt(0) expcnt(0) lgkmcnt(0)                    // 00000000552C: BF8C0000
	v_accvgpr_read_b32 v8, a96                                 // 000000005530: D3D84008 18000160
	v_accvgpr_read_b32 v9, a97                                 // 000000005538: D3D84009 18000161
	v_accvgpr_read_b32 v10, a98                                // 000000005540: D3D8400A 18000162
	v_accvgpr_read_b32 v11, a99                                // 000000005548: D3D8400B 18000163
	buffer_store_dwordx4 v[8:11], v220, s[4:7], 0 offen        // 000000005550: E07C1000 800108DC
	v_add_i32 v220, v220, 64                                   // 000000005558: D29C00DC 000181DC
	s_waitcnt vmcnt(0) expcnt(0) lgkmcnt(0)                    // 000000005560: BF8C0000
	v_accvgpr_read_b32 v8, a4                                  // 000000005564: D3D84008 18000104
	v_accvgpr_read_b32 v9, a5                                  // 00000000556C: D3D84009 18000105
	v_accvgpr_read_b32 v10, a6                                 // 000000005574: D3D8400A 18000106
	v_accvgpr_read_b32 v11, a7                                 // 00000000557C: D3D8400B 18000107
	buffer_store_dwordx4 v[8:11], v221, s[4:7], 0 offen        // 000000005584: E07C1000 800108DD
	v_add_i32 v221, v221, 64                                   // 00000000558C: D29C00DD 000181DD
	s_waitcnt vmcnt(0) expcnt(0) lgkmcnt(0)                    // 000000005594: BF8C0000
	v_accvgpr_read_b32 v8, a36                                 // 000000005598: D3D84008 18000124
	v_accvgpr_read_b32 v9, a37                                 // 0000000055A0: D3D84009 18000125
	v_accvgpr_read_b32 v10, a38                                // 0000000055A8: D3D8400A 18000126
	v_accvgpr_read_b32 v11, a39                                // 0000000055B0: D3D8400B 18000127
	buffer_store_dwordx4 v[8:11], v221, s[4:7], 0 offen        // 0000000055B8: E07C1000 800108DD
	v_add_i32 v221, v221, 64                                   // 0000000055C0: D29C00DD 000181DD
	s_waitcnt vmcnt(0) expcnt(0) lgkmcnt(0)                    // 0000000055C8: BF8C0000
	v_accvgpr_read_b32 v8, a68                                 // 0000000055CC: D3D84008 18000144
	v_accvgpr_read_b32 v9, a69                                 // 0000000055D4: D3D84009 18000145
	v_accvgpr_read_b32 v10, a70                                // 0000000055DC: D3D8400A 18000146
	v_accvgpr_read_b32 v11, a71                                // 0000000055E4: D3D8400B 18000147
	buffer_store_dwordx4 v[8:11], v221, s[4:7], 0 offen        // 0000000055EC: E07C1000 800108DD
	v_add_i32 v221, v221, 64                                   // 0000000055F4: D29C00DD 000181DD
	s_waitcnt vmcnt(0) expcnt(0) lgkmcnt(0)                    // 0000000055FC: BF8C0000
	v_accvgpr_read_b32 v8, a100                                // 000000005600: D3D84008 18000164
	v_accvgpr_read_b32 v9, a101                                // 000000005608: D3D84009 18000165
	v_accvgpr_read_b32 v10, a102                               // 000000005610: D3D8400A 18000166
	v_accvgpr_read_b32 v11, a103                               // 000000005618: D3D8400B 18000167
	buffer_store_dwordx4 v[8:11], v221, s[4:7], 0 offen        // 000000005620: E07C1000 800108DD
	v_add_i32 v221, v221, 64                                   // 000000005628: D29C00DD 000181DD
	s_waitcnt vmcnt(0) expcnt(0) lgkmcnt(0)                    // 000000005630: BF8C0000
	v_accvgpr_read_b32 v8, a8                                  // 000000005634: D3D84008 18000108
	v_accvgpr_read_b32 v9, a9                                  // 00000000563C: D3D84009 18000109
	v_accvgpr_read_b32 v10, a10                                // 000000005644: D3D8400A 1800010A
	v_accvgpr_read_b32 v11, a11                                // 00000000564C: D3D8400B 1800010B
	buffer_store_dwordx4 v[8:11], v222, s[4:7], 0 offen        // 000000005654: E07C1000 800108DE
	v_add_i32 v222, v222, 64                                   // 00000000565C: D29C00DE 000181DE
	s_waitcnt vmcnt(0) expcnt(0) lgkmcnt(0)                    // 000000005664: BF8C0000
	v_accvgpr_read_b32 v8, a40                                 // 000000005668: D3D84008 18000128
	v_accvgpr_read_b32 v9, a41                                 // 000000005670: D3D84009 18000129
	v_accvgpr_read_b32 v10, a42                                // 000000005678: D3D8400A 1800012A
	v_accvgpr_read_b32 v11, a43                                // 000000005680: D3D8400B 1800012B
	buffer_store_dwordx4 v[8:11], v222, s[4:7], 0 offen        // 000000005688: E07C1000 800108DE
	v_add_i32 v222, v222, 64                                   // 000000005690: D29C00DE 000181DE
	s_waitcnt vmcnt(0) expcnt(0) lgkmcnt(0)                    // 000000005698: BF8C0000
	v_accvgpr_read_b32 v8, a72                                 // 00000000569C: D3D84008 18000148
	v_accvgpr_read_b32 v9, a73                                 // 0000000056A4: D3D84009 18000149
	v_accvgpr_read_b32 v10, a74                                // 0000000056AC: D3D8400A 1800014A
	v_accvgpr_read_b32 v11, a75                                // 0000000056B4: D3D8400B 1800014B
	buffer_store_dwordx4 v[8:11], v222, s[4:7], 0 offen        // 0000000056BC: E07C1000 800108DE
	v_add_i32 v222, v222, 64                                   // 0000000056C4: D29C00DE 000181DE
	s_waitcnt vmcnt(0) expcnt(0) lgkmcnt(0)                    // 0000000056CC: BF8C0000
	v_accvgpr_read_b32 v8, a104                                // 0000000056D0: D3D84008 18000168
	v_accvgpr_read_b32 v9, a105                                // 0000000056D8: D3D84009 18000169
	v_accvgpr_read_b32 v10, a106                               // 0000000056E0: D3D8400A 1800016A
	v_accvgpr_read_b32 v11, a107                               // 0000000056E8: D3D8400B 1800016B
	buffer_store_dwordx4 v[8:11], v222, s[4:7], 0 offen        // 0000000056F0: E07C1000 800108DE
	v_add_i32 v222, v222, 64                                   // 0000000056F8: D29C00DE 000181DE
	s_waitcnt vmcnt(0) expcnt(0) lgkmcnt(0)                    // 000000005700: BF8C0000
	v_accvgpr_read_b32 v8, a12                                 // 000000005704: D3D84008 1800010C
	v_accvgpr_read_b32 v9, a13                                 // 00000000570C: D3D84009 1800010D
	v_accvgpr_read_b32 v10, a14                                // 000000005714: D3D8400A 1800010E
	v_accvgpr_read_b32 v11, a15                                // 00000000571C: D3D8400B 1800010F
	buffer_store_dwordx4 v[8:11], v223, s[4:7], 0 offen        // 000000005724: E07C1000 800108DF
	v_add_i32 v223, v223, 64                                   // 00000000572C: D29C00DF 000181DF
	s_waitcnt vmcnt(0) expcnt(0) lgkmcnt(0)                    // 000000005734: BF8C0000
	v_accvgpr_read_b32 v8, a44                                 // 000000005738: D3D84008 1800012C
	v_accvgpr_read_b32 v9, a45                                 // 000000005740: D3D84009 1800012D
	v_accvgpr_read_b32 v10, a46                                // 000000005748: D3D8400A 1800012E
	v_accvgpr_read_b32 v11, a47                                // 000000005750: D3D8400B 1800012F
	buffer_store_dwordx4 v[8:11], v223, s[4:7], 0 offen        // 000000005758: E07C1000 800108DF
	v_add_i32 v223, v223, 64                                   // 000000005760: D29C00DF 000181DF
	s_waitcnt vmcnt(0) expcnt(0) lgkmcnt(0)                    // 000000005768: BF8C0000
	v_accvgpr_read_b32 v8, a76                                 // 00000000576C: D3D84008 1800014C
	v_accvgpr_read_b32 v9, a77                                 // 000000005774: D3D84009 1800014D
	v_accvgpr_read_b32 v10, a78                                // 00000000577C: D3D8400A 1800014E
	v_accvgpr_read_b32 v11, a79                                // 000000005784: D3D8400B 1800014F
	buffer_store_dwordx4 v[8:11], v223, s[4:7], 0 offen        // 00000000578C: E07C1000 800108DF
	v_add_i32 v223, v223, 64                                   // 000000005794: D29C00DF 000181DF
	s_waitcnt vmcnt(0) expcnt(0) lgkmcnt(0)                    // 00000000579C: BF8C0000
	v_accvgpr_read_b32 v8, a108                                // 0000000057A0: D3D84008 1800016C
	v_accvgpr_read_b32 v9, a109                                // 0000000057A8: D3D84009 1800016D
	v_accvgpr_read_b32 v10, a110                               // 0000000057B0: D3D8400A 1800016E
	v_accvgpr_read_b32 v11, a111                               // 0000000057B8: D3D8400B 1800016F
	buffer_store_dwordx4 v[8:11], v223, s[4:7], 0 offen        // 0000000057C0: E07C1000 800108DF
	v_add_i32 v223, v223, 64                                   // 0000000057C8: D29C00DF 000181DF
	s_waitcnt vmcnt(0) expcnt(0) lgkmcnt(0)                    // 0000000057D0: BF8C0000
	v_accvgpr_read_b32 v8, a16                                 // 0000000057D4: D3D84008 18000110
	v_accvgpr_read_b32 v9, a17                                 // 0000000057DC: D3D84009 18000111
	v_accvgpr_read_b32 v10, a18                                // 0000000057E4: D3D8400A 18000112
	v_accvgpr_read_b32 v11, a19                                // 0000000057EC: D3D8400B 18000113
	buffer_store_dwordx4 v[8:11], v224, s[4:7], 0 offen        // 0000000057F4: E07C1000 800108E0
	v_add_i32 v224, v224, 64                                   // 0000000057FC: D29C00E0 000181E0
	s_waitcnt vmcnt(0) expcnt(0) lgkmcnt(0)                    // 000000005804: BF8C0000
	v_accvgpr_read_b32 v8, a48                                 // 000000005808: D3D84008 18000130
	v_accvgpr_read_b32 v9, a49                                 // 000000005810: D3D84009 18000131
	v_accvgpr_read_b32 v10, a50                                // 000000005818: D3D8400A 18000132
	v_accvgpr_read_b32 v11, a51                                // 000000005820: D3D8400B 18000133
	buffer_store_dwordx4 v[8:11], v224, s[4:7], 0 offen        // 000000005828: E07C1000 800108E0
	v_add_i32 v224, v224, 64                                   // 000000005830: D29C00E0 000181E0
	s_waitcnt vmcnt(0) expcnt(0) lgkmcnt(0)                    // 000000005838: BF8C0000
	v_accvgpr_read_b32 v8, a80                                 // 00000000583C: D3D84008 18000150
	v_accvgpr_read_b32 v9, a81                                 // 000000005844: D3D84009 18000151
	v_accvgpr_read_b32 v10, a82                                // 00000000584C: D3D8400A 18000152
	v_accvgpr_read_b32 v11, a83                                // 000000005854: D3D8400B 18000153
	buffer_store_dwordx4 v[8:11], v224, s[4:7], 0 offen        // 00000000585C: E07C1000 800108E0
	v_add_i32 v224, v224, 64                                   // 000000005864: D29C00E0 000181E0
	s_waitcnt vmcnt(0) expcnt(0) lgkmcnt(0)                    // 00000000586C: BF8C0000
	v_accvgpr_read_b32 v8, a112                                // 000000005870: D3D84008 18000170
	v_accvgpr_read_b32 v9, a113                                // 000000005878: D3D84009 18000171
	v_accvgpr_read_b32 v10, a114                               // 000000005880: D3D8400A 18000172
	v_accvgpr_read_b32 v11, a115                               // 000000005888: D3D8400B 18000173
	buffer_store_dwordx4 v[8:11], v224, s[4:7], 0 offen        // 000000005890: E07C1000 800108E0
	v_add_i32 v224, v224, 64                                   // 000000005898: D29C00E0 000181E0
	s_waitcnt vmcnt(0) expcnt(0) lgkmcnt(0)                    // 0000000058A0: BF8C0000
	v_accvgpr_read_b32 v8, a20                                 // 0000000058A4: D3D84008 18000114
	v_accvgpr_read_b32 v9, a21                                 // 0000000058AC: D3D84009 18000115
	v_accvgpr_read_b32 v10, a22                                // 0000000058B4: D3D8400A 18000116
	v_accvgpr_read_b32 v11, a23                                // 0000000058BC: D3D8400B 18000117
	buffer_store_dwordx4 v[8:11], v225, s[4:7], 0 offen        // 0000000058C4: E07C1000 800108E1
	v_add_i32 v225, v225, 64                                   // 0000000058CC: D29C00E1 000181E1
	s_waitcnt vmcnt(0) expcnt(0) lgkmcnt(0)                    // 0000000058D4: BF8C0000
	v_accvgpr_read_b32 v8, a52                                 // 0000000058D8: D3D84008 18000134
	v_accvgpr_read_b32 v9, a53                                 // 0000000058E0: D3D84009 18000135
	v_accvgpr_read_b32 v10, a54                                // 0000000058E8: D3D8400A 18000136
	v_accvgpr_read_b32 v11, a55                                // 0000000058F0: D3D8400B 18000137
	buffer_store_dwordx4 v[8:11], v225, s[4:7], 0 offen        // 0000000058F8: E07C1000 800108E1
	v_add_i32 v225, v225, 64                                   // 000000005900: D29C00E1 000181E1
	s_waitcnt vmcnt(0) expcnt(0) lgkmcnt(0)                    // 000000005908: BF8C0000
	v_accvgpr_read_b32 v8, a84                                 // 00000000590C: D3D84008 18000154
	v_accvgpr_read_b32 v9, a85                                 // 000000005914: D3D84009 18000155
	v_accvgpr_read_b32 v10, a86                                // 00000000591C: D3D8400A 18000156
	v_accvgpr_read_b32 v11, a87                                // 000000005924: D3D8400B 18000157
	buffer_store_dwordx4 v[8:11], v225, s[4:7], 0 offen        // 00000000592C: E07C1000 800108E1
	v_add_i32 v225, v225, 64                                   // 000000005934: D29C00E1 000181E1
	s_waitcnt vmcnt(0) expcnt(0) lgkmcnt(0)                    // 00000000593C: BF8C0000
	v_accvgpr_read_b32 v8, a116                                // 000000005940: D3D84008 18000174
	v_accvgpr_read_b32 v9, a117                                // 000000005948: D3D84009 18000175
	v_accvgpr_read_b32 v10, a118                               // 000000005950: D3D8400A 18000176
	v_accvgpr_read_b32 v11, a119                               // 000000005958: D3D8400B 18000177
	buffer_store_dwordx4 v[8:11], v225, s[4:7], 0 offen        // 000000005960: E07C1000 800108E1
	v_add_i32 v225, v225, 64                                   // 000000005968: D29C00E1 000181E1
	s_waitcnt vmcnt(0) expcnt(0) lgkmcnt(0)                    // 000000005970: BF8C0000
	v_accvgpr_read_b32 v8, a24                                 // 000000005974: D3D84008 18000118
	v_accvgpr_read_b32 v9, a25                                 // 00000000597C: D3D84009 18000119
	v_accvgpr_read_b32 v10, a26                                // 000000005984: D3D8400A 1800011A
	v_accvgpr_read_b32 v11, a27                                // 00000000598C: D3D8400B 1800011B
	buffer_store_dwordx4 v[8:11], v226, s[4:7], 0 offen        // 000000005994: E07C1000 800108E2
	v_add_i32 v226, v226, 64                                   // 00000000599C: D29C00E2 000181E2
	s_waitcnt vmcnt(0) expcnt(0) lgkmcnt(0)                    // 0000000059A4: BF8C0000
	v_accvgpr_read_b32 v8, a56                                 // 0000000059A8: D3D84008 18000138
	v_accvgpr_read_b32 v9, a57                                 // 0000000059B0: D3D84009 18000139
	v_accvgpr_read_b32 v10, a58                                // 0000000059B8: D3D8400A 1800013A
	v_accvgpr_read_b32 v11, a59                                // 0000000059C0: D3D8400B 1800013B
	buffer_store_dwordx4 v[8:11], v226, s[4:7], 0 offen        // 0000000059C8: E07C1000 800108E2
	v_add_i32 v226, v226, 64                                   // 0000000059D0: D29C00E2 000181E2
	s_waitcnt vmcnt(0) expcnt(0) lgkmcnt(0)                    // 0000000059D8: BF8C0000
	v_accvgpr_read_b32 v8, a88                                 // 0000000059DC: D3D84008 18000158
	v_accvgpr_read_b32 v9, a89                                 // 0000000059E4: D3D84009 18000159
	v_accvgpr_read_b32 v10, a90                                // 0000000059EC: D3D8400A 1800015A
	v_accvgpr_read_b32 v11, a91                                // 0000000059F4: D3D8400B 1800015B
	buffer_store_dwordx4 v[8:11], v226, s[4:7], 0 offen        // 0000000059FC: E07C1000 800108E2
	v_add_i32 v226, v226, 64                                   // 000000005A04: D29C00E2 000181E2
	s_waitcnt vmcnt(0) expcnt(0) lgkmcnt(0)                    // 000000005A0C: BF8C0000
	v_accvgpr_read_b32 v8, a120                                // 000000005A10: D3D84008 18000178
	v_accvgpr_read_b32 v9, a121                                // 000000005A18: D3D84009 18000179
	v_accvgpr_read_b32 v10, a122                               // 000000005A20: D3D8400A 1800017A
	v_accvgpr_read_b32 v11, a123                               // 000000005A28: D3D8400B 1800017B
	buffer_store_dwordx4 v[8:11], v226, s[4:7], 0 offen        // 000000005A30: E07C1000 800108E2
	v_add_i32 v226, v226, 64                                   // 000000005A38: D29C00E2 000181E2
	s_waitcnt vmcnt(0) expcnt(0) lgkmcnt(0)                    // 000000005A40: BF8C0000
	v_accvgpr_read_b32 v8, a28                                 // 000000005A44: D3D84008 1800011C
	v_accvgpr_read_b32 v9, a29                                 // 000000005A4C: D3D84009 1800011D
	v_accvgpr_read_b32 v10, a30                                // 000000005A54: D3D8400A 1800011E
	v_accvgpr_read_b32 v11, a31                                // 000000005A5C: D3D8400B 1800011F
	buffer_store_dwordx4 v[8:11], v227, s[4:7], 0 offen        // 000000005A64: E07C1000 800108E3
	v_add_i32 v227, v227, 64                                   // 000000005A6C: D29C00E3 000181E3
	s_waitcnt vmcnt(0) expcnt(0) lgkmcnt(0)                    // 000000005A74: BF8C0000
	v_accvgpr_read_b32 v8, a60                                 // 000000005A78: D3D84008 1800013C
	v_accvgpr_read_b32 v9, a61                                 // 000000005A80: D3D84009 1800013D
	v_accvgpr_read_b32 v10, a62                                // 000000005A88: D3D8400A 1800013E
	v_accvgpr_read_b32 v11, a63                                // 000000005A90: D3D8400B 1800013F
	buffer_store_dwordx4 v[8:11], v227, s[4:7], 0 offen        // 000000005A98: E07C1000 800108E3
	v_add_i32 v227, v227, 64                                   // 000000005AA0: D29C00E3 000181E3
	s_waitcnt vmcnt(0) expcnt(0) lgkmcnt(0)                    // 000000005AA8: BF8C0000
	v_accvgpr_read_b32 v8, a92                                 // 000000005AAC: D3D84008 1800015C
	v_accvgpr_read_b32 v9, a93                                 // 000000005AB4: D3D84009 1800015D
	v_accvgpr_read_b32 v10, a94                                // 000000005ABC: D3D8400A 1800015E
	v_accvgpr_read_b32 v11, a95                                // 000000005AC4: D3D8400B 1800015F
	buffer_store_dwordx4 v[8:11], v227, s[4:7], 0 offen        // 000000005ACC: E07C1000 800108E3
	v_add_i32 v227, v227, 64                                   // 000000005AD4: D29C00E3 000181E3
	s_waitcnt vmcnt(0) expcnt(0) lgkmcnt(0)                    // 000000005ADC: BF8C0000
	v_accvgpr_read_b32 v8, a124                                // 000000005AE0: D3D84008 1800017C
	v_accvgpr_read_b32 v9, a125                                // 000000005AE8: D3D84009 1800017D
	v_accvgpr_read_b32 v10, a126                               // 000000005AF0: D3D8400A 1800017E
	v_accvgpr_read_b32 v11, a127                               // 000000005AF8: D3D8400B 1800017F
	buffer_store_dwordx4 v[8:11], v227, s[4:7], 0 offen        // 000000005B00: E07C1000 800108E3
	v_add_i32 v227, v227, 64                                   // 000000005B08: D29C00E3 000181E3
	s_waitcnt vmcnt(0) expcnt(0) lgkmcnt(0)                    // 000000005B10: BF8C0000
	v_accvgpr_read_b32 v8, a128                                // 000000005B14: D3D84008 18000180
	v_accvgpr_read_b32 v9, a129                                // 000000005B1C: D3D84009 18000181
	v_accvgpr_read_b32 v10, a130                               // 000000005B24: D3D8400A 18000182
	v_accvgpr_read_b32 v11, a131                               // 000000005B2C: D3D8400B 18000183
	buffer_store_dwordx4 v[8:11], v228, s[4:7], 0 offen        // 000000005B34: E07C1000 800108E4
	v_add_i32 v228, v228, 64                                   // 000000005B3C: D29C00E4 000181E4
	s_waitcnt vmcnt(0) expcnt(0) lgkmcnt(0)                    // 000000005B44: BF8C0000
	v_accvgpr_read_b32 v8, a160                                // 000000005B48: D3D84008 180001A0
	v_accvgpr_read_b32 v9, a161                                // 000000005B50: D3D84009 180001A1
	v_accvgpr_read_b32 v10, a162                               // 000000005B58: D3D8400A 180001A2
	v_accvgpr_read_b32 v11, a163                               // 000000005B60: D3D8400B 180001A3
	buffer_store_dwordx4 v[8:11], v228, s[4:7], 0 offen        // 000000005B68: E07C1000 800108E4
	v_add_i32 v228, v228, 64                                   // 000000005B70: D29C00E4 000181E4
	s_waitcnt vmcnt(0) expcnt(0) lgkmcnt(0)                    // 000000005B78: BF8C0000
	v_accvgpr_read_b32 v8, a192                                // 000000005B7C: D3D84008 180001C0
	v_accvgpr_read_b32 v9, a193                                // 000000005B84: D3D84009 180001C1
	v_accvgpr_read_b32 v10, a194                               // 000000005B8C: D3D8400A 180001C2
	v_accvgpr_read_b32 v11, a195                               // 000000005B94: D3D8400B 180001C3
	buffer_store_dwordx4 v[8:11], v228, s[4:7], 0 offen        // 000000005B9C: E07C1000 800108E4
	v_add_i32 v228, v228, 64                                   // 000000005BA4: D29C00E4 000181E4
	s_waitcnt vmcnt(0) expcnt(0) lgkmcnt(0)                    // 000000005BAC: BF8C0000
	v_accvgpr_read_b32 v8, a224                                // 000000005BB0: D3D84008 180001E0
	v_accvgpr_read_b32 v9, a225                                // 000000005BB8: D3D84009 180001E1
	v_accvgpr_read_b32 v10, a226                               // 000000005BC0: D3D8400A 180001E2
	v_accvgpr_read_b32 v11, a227                               // 000000005BC8: D3D8400B 180001E3
	buffer_store_dwordx4 v[8:11], v228, s[4:7], 0 offen        // 000000005BD0: E07C1000 800108E4
	v_add_i32 v228, v228, 64                                   // 000000005BD8: D29C00E4 000181E4
	s_waitcnt vmcnt(0) expcnt(0) lgkmcnt(0)                    // 000000005BE0: BF8C0000
	v_accvgpr_read_b32 v8, a132                                // 000000005BE4: D3D84008 18000184
	v_accvgpr_read_b32 v9, a133                                // 000000005BEC: D3D84009 18000185
	v_accvgpr_read_b32 v10, a134                               // 000000005BF4: D3D8400A 18000186
	v_accvgpr_read_b32 v11, a135                               // 000000005BFC: D3D8400B 18000187
	buffer_store_dwordx4 v[8:11], v229, s[4:7], 0 offen        // 000000005C04: E07C1000 800108E5
	v_add_i32 v229, v229, 64                                   // 000000005C0C: D29C00E5 000181E5
	s_waitcnt vmcnt(0) expcnt(0) lgkmcnt(0)                    // 000000005C14: BF8C0000
	v_accvgpr_read_b32 v8, a164                                // 000000005C18: D3D84008 180001A4
	v_accvgpr_read_b32 v9, a165                                // 000000005C20: D3D84009 180001A5
	v_accvgpr_read_b32 v10, a166                               // 000000005C28: D3D8400A 180001A6
	v_accvgpr_read_b32 v11, a167                               // 000000005C30: D3D8400B 180001A7
	buffer_store_dwordx4 v[8:11], v229, s[4:7], 0 offen        // 000000005C38: E07C1000 800108E5
	v_add_i32 v229, v229, 64                                   // 000000005C40: D29C00E5 000181E5
	s_waitcnt vmcnt(0) expcnt(0) lgkmcnt(0)                    // 000000005C48: BF8C0000
	v_accvgpr_read_b32 v8, a196                                // 000000005C4C: D3D84008 180001C4
	v_accvgpr_read_b32 v9, a197                                // 000000005C54: D3D84009 180001C5
	v_accvgpr_read_b32 v10, a198                               // 000000005C5C: D3D8400A 180001C6
	v_accvgpr_read_b32 v11, a199                               // 000000005C64: D3D8400B 180001C7
	buffer_store_dwordx4 v[8:11], v229, s[4:7], 0 offen        // 000000005C6C: E07C1000 800108E5
	v_add_i32 v229, v229, 64                                   // 000000005C74: D29C00E5 000181E5
	s_waitcnt vmcnt(0) expcnt(0) lgkmcnt(0)                    // 000000005C7C: BF8C0000
	v_accvgpr_read_b32 v8, a228                                // 000000005C80: D3D84008 180001E4
	v_accvgpr_read_b32 v9, a229                                // 000000005C88: D3D84009 180001E5
	v_accvgpr_read_b32 v10, a230                               // 000000005C90: D3D8400A 180001E6
	v_accvgpr_read_b32 v11, a231                               // 000000005C98: D3D8400B 180001E7
	buffer_store_dwordx4 v[8:11], v229, s[4:7], 0 offen        // 000000005CA0: E07C1000 800108E5
	v_add_i32 v229, v229, 64                                   // 000000005CA8: D29C00E5 000181E5
	s_waitcnt vmcnt(0) expcnt(0) lgkmcnt(0)                    // 000000005CB0: BF8C0000
	v_accvgpr_read_b32 v8, a136                                // 000000005CB4: D3D84008 18000188
	v_accvgpr_read_b32 v9, a137                                // 000000005CBC: D3D84009 18000189
	v_accvgpr_read_b32 v10, a138                               // 000000005CC4: D3D8400A 1800018A
	v_accvgpr_read_b32 v11, a139                               // 000000005CCC: D3D8400B 1800018B
	buffer_store_dwordx4 v[8:11], v230, s[4:7], 0 offen        // 000000005CD4: E07C1000 800108E6
	v_add_i32 v230, v230, 64                                   // 000000005CDC: D29C00E6 000181E6
	s_waitcnt vmcnt(0) expcnt(0) lgkmcnt(0)                    // 000000005CE4: BF8C0000
	v_accvgpr_read_b32 v8, a168                                // 000000005CE8: D3D84008 180001A8
	v_accvgpr_read_b32 v9, a169                                // 000000005CF0: D3D84009 180001A9
	v_accvgpr_read_b32 v10, a170                               // 000000005CF8: D3D8400A 180001AA
	v_accvgpr_read_b32 v11, a171                               // 000000005D00: D3D8400B 180001AB
	buffer_store_dwordx4 v[8:11], v230, s[4:7], 0 offen        // 000000005D08: E07C1000 800108E6
	v_add_i32 v230, v230, 64                                   // 000000005D10: D29C00E6 000181E6
	s_waitcnt vmcnt(0) expcnt(0) lgkmcnt(0)                    // 000000005D18: BF8C0000
	v_accvgpr_read_b32 v8, a200                                // 000000005D1C: D3D84008 180001C8
	v_accvgpr_read_b32 v9, a201                                // 000000005D24: D3D84009 180001C9
	v_accvgpr_read_b32 v10, a202                               // 000000005D2C: D3D8400A 180001CA
	v_accvgpr_read_b32 v11, a203                               // 000000005D34: D3D8400B 180001CB
	buffer_store_dwordx4 v[8:11], v230, s[4:7], 0 offen        // 000000005D3C: E07C1000 800108E6
	v_add_i32 v230, v230, 64                                   // 000000005D44: D29C00E6 000181E6
	s_waitcnt vmcnt(0) expcnt(0) lgkmcnt(0)                    // 000000005D4C: BF8C0000
	v_accvgpr_read_b32 v8, a232                                // 000000005D50: D3D84008 180001E8
	v_accvgpr_read_b32 v9, a233                                // 000000005D58: D3D84009 180001E9
	v_accvgpr_read_b32 v10, a234                               // 000000005D60: D3D8400A 180001EA
	v_accvgpr_read_b32 v11, a235                               // 000000005D68: D3D8400B 180001EB
	buffer_store_dwordx4 v[8:11], v230, s[4:7], 0 offen        // 000000005D70: E07C1000 800108E6
	v_add_i32 v230, v230, 64                                   // 000000005D78: D29C00E6 000181E6
	s_waitcnt vmcnt(0) expcnt(0) lgkmcnt(0)                    // 000000005D80: BF8C0000
	v_accvgpr_read_b32 v8, a140                                // 000000005D84: D3D84008 1800018C
	v_accvgpr_read_b32 v9, a141                                // 000000005D8C: D3D84009 1800018D
	v_accvgpr_read_b32 v10, a142                               // 000000005D94: D3D8400A 1800018E
	v_accvgpr_read_b32 v11, a143                               // 000000005D9C: D3D8400B 1800018F
	buffer_store_dwordx4 v[8:11], v231, s[4:7], 0 offen        // 000000005DA4: E07C1000 800108E7
	v_add_i32 v231, v231, 64                                   // 000000005DAC: D29C00E7 000181E7
	s_waitcnt vmcnt(0) expcnt(0) lgkmcnt(0)                    // 000000005DB4: BF8C0000
	v_accvgpr_read_b32 v8, a172                                // 000000005DB8: D3D84008 180001AC
	v_accvgpr_read_b32 v9, a173                                // 000000005DC0: D3D84009 180001AD
	v_accvgpr_read_b32 v10, a174                               // 000000005DC8: D3D8400A 180001AE
	v_accvgpr_read_b32 v11, a175                               // 000000005DD0: D3D8400B 180001AF
	buffer_store_dwordx4 v[8:11], v231, s[4:7], 0 offen        // 000000005DD8: E07C1000 800108E7
	v_add_i32 v231, v231, 64                                   // 000000005DE0: D29C00E7 000181E7
	s_waitcnt vmcnt(0) expcnt(0) lgkmcnt(0)                    // 000000005DE8: BF8C0000
	v_accvgpr_read_b32 v8, a204                                // 000000005DEC: D3D84008 180001CC
	v_accvgpr_read_b32 v9, a205                                // 000000005DF4: D3D84009 180001CD
	v_accvgpr_read_b32 v10, a206                               // 000000005DFC: D3D8400A 180001CE
	v_accvgpr_read_b32 v11, a207                               // 000000005E04: D3D8400B 180001CF
	buffer_store_dwordx4 v[8:11], v231, s[4:7], 0 offen        // 000000005E0C: E07C1000 800108E7
	v_add_i32 v231, v231, 64                                   // 000000005E14: D29C00E7 000181E7
	s_waitcnt vmcnt(0) expcnt(0) lgkmcnt(0)                    // 000000005E1C: BF8C0000
	v_accvgpr_read_b32 v8, a236                                // 000000005E20: D3D84008 180001EC
	v_accvgpr_read_b32 v9, a237                                // 000000005E28: D3D84009 180001ED
	v_accvgpr_read_b32 v10, a238                               // 000000005E30: D3D8400A 180001EE
	v_accvgpr_read_b32 v11, a239                               // 000000005E38: D3D8400B 180001EF
	buffer_store_dwordx4 v[8:11], v231, s[4:7], 0 offen        // 000000005E40: E07C1000 800108E7
	v_add_i32 v231, v231, 64                                   // 000000005E48: D29C00E7 000181E7
	s_waitcnt vmcnt(0) expcnt(0) lgkmcnt(0)                    // 000000005E50: BF8C0000
	v_accvgpr_read_b32 v8, a144                                // 000000005E54: D3D84008 18000190
	v_accvgpr_read_b32 v9, a145                                // 000000005E5C: D3D84009 18000191
	v_accvgpr_read_b32 v10, a146                               // 000000005E64: D3D8400A 18000192
	v_accvgpr_read_b32 v11, a147                               // 000000005E6C: D3D8400B 18000193
	buffer_store_dwordx4 v[8:11], v232, s[4:7], 0 offen        // 000000005E74: E07C1000 800108E8
	v_add_i32 v232, v232, 64                                   // 000000005E7C: D29C00E8 000181E8
	s_waitcnt vmcnt(0) expcnt(0) lgkmcnt(0)                    // 000000005E84: BF8C0000
	v_accvgpr_read_b32 v8, a176                                // 000000005E88: D3D84008 180001B0
	v_accvgpr_read_b32 v9, a177                                // 000000005E90: D3D84009 180001B1
	v_accvgpr_read_b32 v10, a178                               // 000000005E98: D3D8400A 180001B2
	v_accvgpr_read_b32 v11, a179                               // 000000005EA0: D3D8400B 180001B3
	buffer_store_dwordx4 v[8:11], v232, s[4:7], 0 offen        // 000000005EA8: E07C1000 800108E8
	v_add_i32 v232, v232, 64                                   // 000000005EB0: D29C00E8 000181E8
	s_waitcnt vmcnt(0) expcnt(0) lgkmcnt(0)                    // 000000005EB8: BF8C0000
	v_accvgpr_read_b32 v8, a208                                // 000000005EBC: D3D84008 180001D0
	v_accvgpr_read_b32 v9, a209                                // 000000005EC4: D3D84009 180001D1
	v_accvgpr_read_b32 v10, a210                               // 000000005ECC: D3D8400A 180001D2
	v_accvgpr_read_b32 v11, a211                               // 000000005ED4: D3D8400B 180001D3
	buffer_store_dwordx4 v[8:11], v232, s[4:7], 0 offen        // 000000005EDC: E07C1000 800108E8
	v_add_i32 v232, v232, 64                                   // 000000005EE4: D29C00E8 000181E8
	s_waitcnt vmcnt(0) expcnt(0) lgkmcnt(0)                    // 000000005EEC: BF8C0000
	v_accvgpr_read_b32 v8, a240                                // 000000005EF0: D3D84008 180001F0
	v_accvgpr_read_b32 v9, a241                                // 000000005EF8: D3D84009 180001F1
	v_accvgpr_read_b32 v10, a242                               // 000000005F00: D3D8400A 180001F2
	v_accvgpr_read_b32 v11, a243                               // 000000005F08: D3D8400B 180001F3
	buffer_store_dwordx4 v[8:11], v232, s[4:7], 0 offen        // 000000005F10: E07C1000 800108E8
	v_add_i32 v232, v232, 64                                   // 000000005F18: D29C00E8 000181E8
	s_waitcnt vmcnt(0) expcnt(0) lgkmcnt(0)                    // 000000005F20: BF8C0000
	v_accvgpr_read_b32 v8, a148                                // 000000005F24: D3D84008 18000194
	v_accvgpr_read_b32 v9, a149                                // 000000005F2C: D3D84009 18000195
	v_accvgpr_read_b32 v10, a150                               // 000000005F34: D3D8400A 18000196
	v_accvgpr_read_b32 v11, a151                               // 000000005F3C: D3D8400B 18000197
	buffer_store_dwordx4 v[8:11], v233, s[4:7], 0 offen        // 000000005F44: E07C1000 800108E9
	v_add_i32 v233, v233, 64                                   // 000000005F4C: D29C00E9 000181E9
	s_waitcnt vmcnt(0) expcnt(0) lgkmcnt(0)                    // 000000005F54: BF8C0000
	v_accvgpr_read_b32 v8, a180                                // 000000005F58: D3D84008 180001B4
	v_accvgpr_read_b32 v9, a181                                // 000000005F60: D3D84009 180001B5
	v_accvgpr_read_b32 v10, a182                               // 000000005F68: D3D8400A 180001B6
	v_accvgpr_read_b32 v11, a183                               // 000000005F70: D3D8400B 180001B7
	buffer_store_dwordx4 v[8:11], v233, s[4:7], 0 offen        // 000000005F78: E07C1000 800108E9
	v_add_i32 v233, v233, 64                                   // 000000005F80: D29C00E9 000181E9
	s_waitcnt vmcnt(0) expcnt(0) lgkmcnt(0)                    // 000000005F88: BF8C0000
	v_accvgpr_read_b32 v8, a212                                // 000000005F8C: D3D84008 180001D4
	v_accvgpr_read_b32 v9, a213                                // 000000005F94: D3D84009 180001D5
	v_accvgpr_read_b32 v10, a214                               // 000000005F9C: D3D8400A 180001D6
	v_accvgpr_read_b32 v11, a215                               // 000000005FA4: D3D8400B 180001D7
	buffer_store_dwordx4 v[8:11], v233, s[4:7], 0 offen        // 000000005FAC: E07C1000 800108E9
	v_add_i32 v233, v233, 64                                   // 000000005FB4: D29C00E9 000181E9
	s_waitcnt vmcnt(0) expcnt(0) lgkmcnt(0)                    // 000000005FBC: BF8C0000
	v_accvgpr_read_b32 v8, a244                                // 000000005FC0: D3D84008 180001F4
	v_accvgpr_read_b32 v9, a245                                // 000000005FC8: D3D84009 180001F5
	v_accvgpr_read_b32 v10, a246                               // 000000005FD0: D3D8400A 180001F6
	v_accvgpr_read_b32 v11, a247                               // 000000005FD8: D3D8400B 180001F7
	buffer_store_dwordx4 v[8:11], v233, s[4:7], 0 offen        // 000000005FE0: E07C1000 800108E9
	v_add_i32 v233, v233, 64                                   // 000000005FE8: D29C00E9 000181E9
	s_waitcnt vmcnt(0) expcnt(0) lgkmcnt(0)                    // 000000005FF0: BF8C0000
	v_accvgpr_read_b32 v8, a152                                // 000000005FF4: D3D84008 18000198
	v_accvgpr_read_b32 v9, a153                                // 000000005FFC: D3D84009 18000199
	v_accvgpr_read_b32 v10, a154                               // 000000006004: D3D8400A 1800019A
	v_accvgpr_read_b32 v11, a155                               // 00000000600C: D3D8400B 1800019B
	buffer_store_dwordx4 v[8:11], v234, s[4:7], 0 offen        // 000000006014: E07C1000 800108EA
	v_add_i32 v234, v234, 64                                   // 00000000601C: D29C00EA 000181EA
	s_waitcnt vmcnt(0) expcnt(0) lgkmcnt(0)                    // 000000006024: BF8C0000
	v_accvgpr_read_b32 v8, a184                                // 000000006028: D3D84008 180001B8
	v_accvgpr_read_b32 v9, a185                                // 000000006030: D3D84009 180001B9
	v_accvgpr_read_b32 v10, a186                               // 000000006038: D3D8400A 180001BA
	v_accvgpr_read_b32 v11, a187                               // 000000006040: D3D8400B 180001BB
	buffer_store_dwordx4 v[8:11], v234, s[4:7], 0 offen        // 000000006048: E07C1000 800108EA
	v_add_i32 v234, v234, 64                                   // 000000006050: D29C00EA 000181EA
	s_waitcnt vmcnt(0) expcnt(0) lgkmcnt(0)                    // 000000006058: BF8C0000
	v_accvgpr_read_b32 v8, a216                                // 00000000605C: D3D84008 180001D8
	v_accvgpr_read_b32 v9, a217                                // 000000006064: D3D84009 180001D9
	v_accvgpr_read_b32 v10, a218                               // 00000000606C: D3D8400A 180001DA
	v_accvgpr_read_b32 v11, a219                               // 000000006074: D3D8400B 180001DB
	buffer_store_dwordx4 v[8:11], v234, s[4:7], 0 offen        // 00000000607C: E07C1000 800108EA
	v_add_i32 v234, v234, 64                                   // 000000006084: D29C00EA 000181EA
	s_waitcnt vmcnt(0) expcnt(0) lgkmcnt(0)                    // 00000000608C: BF8C0000
	v_accvgpr_read_b32 v8, a248                                // 000000006090: D3D84008 180001F8
	v_accvgpr_read_b32 v9, a249                                // 000000006098: D3D84009 180001F9
	v_accvgpr_read_b32 v10, a250                               // 0000000060A0: D3D8400A 180001FA
	v_accvgpr_read_b32 v11, a251                               // 0000000060A8: D3D8400B 180001FB
	buffer_store_dwordx4 v[8:11], v234, s[4:7], 0 offen        // 0000000060B0: E07C1000 800108EA
	v_add_i32 v234, v234, 64                                   // 0000000060B8: D29C00EA 000181EA
	s_waitcnt vmcnt(0) expcnt(0) lgkmcnt(0)                    // 0000000060C0: BF8C0000
	v_accvgpr_read_b32 v8, a156                                // 0000000060C4: D3D84008 1800019C
	v_accvgpr_read_b32 v9, a157                                // 0000000060CC: D3D84009 1800019D
	v_accvgpr_read_b32 v10, a158                               // 0000000060D4: D3D8400A 1800019E
	v_accvgpr_read_b32 v11, a159                               // 0000000060DC: D3D8400B 1800019F
	buffer_store_dwordx4 v[8:11], v235, s[4:7], 0 offen        // 0000000060E4: E07C1000 800108EB
	v_add_i32 v235, v235, 64                                   // 0000000060EC: D29C00EB 000181EB
	s_waitcnt vmcnt(0) expcnt(0) lgkmcnt(0)                    // 0000000060F4: BF8C0000
	v_accvgpr_read_b32 v8, a188                                // 0000000060F8: D3D84008 180001BC
	v_accvgpr_read_b32 v9, a189                                // 000000006100: D3D84009 180001BD
	v_accvgpr_read_b32 v10, a190                               // 000000006108: D3D8400A 180001BE
	v_accvgpr_read_b32 v11, a191                               // 000000006110: D3D8400B 180001BF
	buffer_store_dwordx4 v[8:11], v235, s[4:7], 0 offen        // 000000006118: E07C1000 800108EB
	v_add_i32 v235, v235, 64                                   // 000000006120: D29C00EB 000181EB
	s_waitcnt vmcnt(0) expcnt(0) lgkmcnt(0)                    // 000000006128: BF8C0000
	v_accvgpr_read_b32 v8, a220                                // 00000000612C: D3D84008 180001DC
	v_accvgpr_read_b32 v9, a221                                // 000000006134: D3D84009 180001DD
	v_accvgpr_read_b32 v10, a222                               // 00000000613C: D3D8400A 180001DE
	v_accvgpr_read_b32 v11, a223                               // 000000006144: D3D8400B 180001DF
	buffer_store_dwordx4 v[8:11], v235, s[4:7], 0 offen        // 00000000614C: E07C1000 800108EB
	v_add_i32 v235, v235, 64                                   // 000000006154: D29C00EB 000181EB
	s_waitcnt vmcnt(0) expcnt(0) lgkmcnt(0)                    // 00000000615C: BF8C0000
	v_accvgpr_read_b32 v8, a252                                // 000000006160: D3D84008 180001FC
	v_accvgpr_read_b32 v9, a253                                // 000000006168: D3D84009 180001FD
	v_accvgpr_read_b32 v10, a254                               // 000000006170: D3D8400A 180001FE
	v_accvgpr_read_b32 v11, a255                               // 000000006178: D3D8400B 180001FF
	buffer_store_dwordx4 v[8:11], v235, s[4:7], 0 offen        // 000000006180: E07C1000 800108EB
	v_add_i32 v235, v235, 64                                   // 000000006188: D29C00EB 000181EB
	s_waitcnt vmcnt(0) expcnt(0) lgkmcnt(0)                    // 000000006190: BF8C0000
	s_branch label_127D                                        // 000000006194: BF820450

0000000000006198 <label_0E2D>:
	v_accvgpr_read_b32 v8, a0                                  // 000000006198: D3D84008 18000100
	v_accvgpr_read_b32 v9, a1                                  // 0000000061A0: D3D84009 18000101
	v_accvgpr_read_b32 v10, a2                                 // 0000000061A8: D3D8400A 18000102
	v_accvgpr_read_b32 v11, a3                                 // 0000000061B0: D3D8400B 18000103
	v_accvgpr_read_b32 v12, a32                                // 0000000061B8: D3D8400C 18000120
	v_accvgpr_read_b32 v13, a33                                // 0000000061C0: D3D8400D 18000121
	v_accvgpr_read_b32 v14, a34                                // 0000000061C8: D3D8400E 18000122
	v_accvgpr_read_b32 v15, a35                                // 0000000061D0: D3D8400F 18000123
	v_cvt_pk_bf16_f32 v16, v8, v9                              // 0000000061D8: D2680010 00021308
	v_cvt_pk_bf16_f32 v17, v10, v11                            // 0000000061E0: D2680011 0002170A
	v_cvt_pk_bf16_f32 v18, v12, v13                            // 0000000061E8: D2680012 00021B0C
	v_cvt_pk_bf16_f32 v19, v14, v15                            // 0000000061F0: D2680013 00021F0E
	s_nop 1                                                    // 0000000061F8: BF800001
	v_permlane16_swap_b32_e32 v16, v18                         // 0000000061FC: 7E20B312
	s_nop 1                                                    // 000000006200: BF800001
	v_permlane16_swap_b32_e32 v17, v19                         // 000000006204: 7E22B313
	s_nop 1                                                    // 000000006208: BF800001
	buffer_store_dwordx4 v[16:19], v220, s[4:7], 0 offen       // 00000000620C: E07C1000 800110DC
	v_add_i32 v220, v220, 64                                   // 000000006214: D29C00DC 000181DC
	v_accvgpr_read_b32 v8, a64                                 // 00000000621C: D3D84008 18000140
	v_accvgpr_read_b32 v9, a65                                 // 000000006224: D3D84009 18000141
	v_accvgpr_read_b32 v10, a66                                // 00000000622C: D3D8400A 18000142
	v_accvgpr_read_b32 v11, a67                                // 000000006234: D3D8400B 18000143
	v_accvgpr_read_b32 v12, a96                                // 00000000623C: D3D8400C 18000160
	v_accvgpr_read_b32 v13, a97                                // 000000006244: D3D8400D 18000161
	v_accvgpr_read_b32 v14, a98                                // 00000000624C: D3D8400E 18000162
	v_accvgpr_read_b32 v15, a99                                // 000000006254: D3D8400F 18000163
	v_cvt_pk_bf16_f32 v16, v8, v9                              // 00000000625C: D2680010 00021308
	v_cvt_pk_bf16_f32 v17, v10, v11                            // 000000006264: D2680011 0002170A
	v_cvt_pk_bf16_f32 v18, v12, v13                            // 00000000626C: D2680012 00021B0C
	v_cvt_pk_bf16_f32 v19, v14, v15                            // 000000006274: D2680013 00021F0E
	s_nop 1                                                    // 00000000627C: BF800001
	v_permlane16_swap_b32_e32 v16, v18                         // 000000006280: 7E20B312
	s_nop 1                                                    // 000000006284: BF800001
	v_permlane16_swap_b32_e32 v17, v19                         // 000000006288: 7E22B313
	s_nop 1                                                    // 00000000628C: BF800001
	buffer_store_dwordx4 v[16:19], v220, s[4:7], 0 offen       // 000000006290: E07C1000 800110DC
	v_add_i32 v220, v220, 64                                   // 000000006298: D29C00DC 000181DC
	s_addk_i32 s49, 0x1                                        // 0000000062A0: B7310001
	s_cmp_lt_i32 s49, s50                                      // 0000000062A4: BF043231
	s_cbranch_scc0 label_127D                                  // 0000000062A8: BF84040B
	v_accvgpr_read_b32 v8, a4                                  // 0000000062AC: D3D84008 18000104
	v_accvgpr_read_b32 v9, a5                                  // 0000000062B4: D3D84009 18000105
	v_accvgpr_read_b32 v10, a6                                 // 0000000062BC: D3D8400A 18000106
	v_accvgpr_read_b32 v11, a7                                 // 0000000062C4: D3D8400B 18000107
	v_accvgpr_read_b32 v12, a36                                // 0000000062CC: D3D8400C 18000124
	v_accvgpr_read_b32 v13, a37                                // 0000000062D4: D3D8400D 18000125
	v_accvgpr_read_b32 v14, a38                                // 0000000062DC: D3D8400E 18000126
	v_accvgpr_read_b32 v15, a39                                // 0000000062E4: D3D8400F 18000127
	v_cvt_pk_bf16_f32 v16, v8, v9                              // 0000000062EC: D2680010 00021308
	v_cvt_pk_bf16_f32 v17, v10, v11                            // 0000000062F4: D2680011 0002170A
	v_cvt_pk_bf16_f32 v18, v12, v13                            // 0000000062FC: D2680012 00021B0C
	v_cvt_pk_bf16_f32 v19, v14, v15                            // 000000006304: D2680013 00021F0E
	s_nop 1                                                    // 00000000630C: BF800001
	v_permlane16_swap_b32_e32 v16, v18                         // 000000006310: 7E20B312
	s_nop 1                                                    // 000000006314: BF800001
	v_permlane16_swap_b32_e32 v17, v19                         // 000000006318: 7E22B313
	s_nop 1                                                    // 00000000631C: BF800001
	buffer_store_dwordx4 v[16:19], v221, s[4:7], 0 offen       // 000000006320: E07C1000 800110DD
	v_add_i32 v221, v221, 64                                   // 000000006328: D29C00DD 000181DD
	v_accvgpr_read_b32 v8, a68                                 // 000000006330: D3D84008 18000144
	v_accvgpr_read_b32 v9, a69                                 // 000000006338: D3D84009 18000145
	v_accvgpr_read_b32 v10, a70                                // 000000006340: D3D8400A 18000146
	v_accvgpr_read_b32 v11, a71                                // 000000006348: D3D8400B 18000147
	v_accvgpr_read_b32 v12, a100                               // 000000006350: D3D8400C 18000164
	v_accvgpr_read_b32 v13, a101                               // 000000006358: D3D8400D 18000165
	v_accvgpr_read_b32 v14, a102                               // 000000006360: D3D8400E 18000166
	v_accvgpr_read_b32 v15, a103                               // 000000006368: D3D8400F 18000167
	v_cvt_pk_bf16_f32 v16, v8, v9                              // 000000006370: D2680010 00021308
	v_cvt_pk_bf16_f32 v17, v10, v11                            // 000000006378: D2680011 0002170A
	v_cvt_pk_bf16_f32 v18, v12, v13                            // 000000006380: D2680012 00021B0C
	v_cvt_pk_bf16_f32 v19, v14, v15                            // 000000006388: D2680013 00021F0E
	s_nop 1                                                    // 000000006390: BF800001
	v_permlane16_swap_b32_e32 v16, v18                         // 000000006394: 7E20B312
	s_nop 1                                                    // 000000006398: BF800001
	v_permlane16_swap_b32_e32 v17, v19                         // 00000000639C: 7E22B313
	s_nop 1                                                    // 0000000063A0: BF800001
	buffer_store_dwordx4 v[16:19], v221, s[4:7], 0 offen       // 0000000063A4: E07C1000 800110DD
	v_add_i32 v221, v221, 64                                   // 0000000063AC: D29C00DD 000181DD
	s_addk_i32 s49, 0x1                                        // 0000000063B4: B7310001
	s_cmp_lt_i32 s49, s50                                      // 0000000063B8: BF043231
	s_cbranch_scc0 label_127D                                  // 0000000063BC: BF8403C6
	v_accvgpr_read_b32 v8, a8                                  // 0000000063C0: D3D84008 18000108
	v_accvgpr_read_b32 v9, a9                                  // 0000000063C8: D3D84009 18000109
	v_accvgpr_read_b32 v10, a10                                // 0000000063D0: D3D8400A 1800010A
	v_accvgpr_read_b32 v11, a11                                // 0000000063D8: D3D8400B 1800010B
	v_accvgpr_read_b32 v12, a40                                // 0000000063E0: D3D8400C 18000128
	v_accvgpr_read_b32 v13, a41                                // 0000000063E8: D3D8400D 18000129
	v_accvgpr_read_b32 v14, a42                                // 0000000063F0: D3D8400E 1800012A
	v_accvgpr_read_b32 v15, a43                                // 0000000063F8: D3D8400F 1800012B
	v_cvt_pk_bf16_f32 v16, v8, v9                              // 000000006400: D2680010 00021308
	v_cvt_pk_bf16_f32 v17, v10, v11                            // 000000006408: D2680011 0002170A
	v_cvt_pk_bf16_f32 v18, v12, v13                            // 000000006410: D2680012 00021B0C
	v_cvt_pk_bf16_f32 v19, v14, v15                            // 000000006418: D2680013 00021F0E
	s_nop 1                                                    // 000000006420: BF800001
	v_permlane16_swap_b32_e32 v16, v18                         // 000000006424: 7E20B312
	s_nop 1                                                    // 000000006428: BF800001
	v_permlane16_swap_b32_e32 v17, v19                         // 00000000642C: 7E22B313
	s_nop 1                                                    // 000000006430: BF800001
	buffer_store_dwordx4 v[16:19], v222, s[4:7], 0 offen       // 000000006434: E07C1000 800110DE
	v_add_i32 v222, v222, 64                                   // 00000000643C: D29C00DE 000181DE
	v_accvgpr_read_b32 v8, a72                                 // 000000006444: D3D84008 18000148
	v_accvgpr_read_b32 v9, a73                                 // 00000000644C: D3D84009 18000149
	v_accvgpr_read_b32 v10, a74                                // 000000006454: D3D8400A 1800014A
	v_accvgpr_read_b32 v11, a75                                // 00000000645C: D3D8400B 1800014B
	v_accvgpr_read_b32 v12, a104                               // 000000006464: D3D8400C 18000168
	v_accvgpr_read_b32 v13, a105                               // 00000000646C: D3D8400D 18000169
	v_accvgpr_read_b32 v14, a106                               // 000000006474: D3D8400E 1800016A
	v_accvgpr_read_b32 v15, a107                               // 00000000647C: D3D8400F 1800016B
	v_cvt_pk_bf16_f32 v16, v8, v9                              // 000000006484: D2680010 00021308
	v_cvt_pk_bf16_f32 v17, v10, v11                            // 00000000648C: D2680011 0002170A
	v_cvt_pk_bf16_f32 v18, v12, v13                            // 000000006494: D2680012 00021B0C
	v_cvt_pk_bf16_f32 v19, v14, v15                            // 00000000649C: D2680013 00021F0E
	s_nop 1                                                    // 0000000064A4: BF800001
	v_permlane16_swap_b32_e32 v16, v18                         // 0000000064A8: 7E20B312
	s_nop 1                                                    // 0000000064AC: BF800001
	v_permlane16_swap_b32_e32 v17, v19                         // 0000000064B0: 7E22B313
	s_nop 1                                                    // 0000000064B4: BF800001
	buffer_store_dwordx4 v[16:19], v222, s[4:7], 0 offen       // 0000000064B8: E07C1000 800110DE
	v_add_i32 v222, v222, 64                                   // 0000000064C0: D29C00DE 000181DE
	s_addk_i32 s49, 0x1                                        // 0000000064C8: B7310001
	s_cmp_lt_i32 s49, s50                                      // 0000000064CC: BF043231
	s_cbranch_scc0 label_127D                                  // 0000000064D0: BF840381
	v_accvgpr_read_b32 v8, a12                                 // 0000000064D4: D3D84008 1800010C
	v_accvgpr_read_b32 v9, a13                                 // 0000000064DC: D3D84009 1800010D
	v_accvgpr_read_b32 v10, a14                                // 0000000064E4: D3D8400A 1800010E
	v_accvgpr_read_b32 v11, a15                                // 0000000064EC: D3D8400B 1800010F
	v_accvgpr_read_b32 v12, a44                                // 0000000064F4: D3D8400C 1800012C
	v_accvgpr_read_b32 v13, a45                                // 0000000064FC: D3D8400D 1800012D
	v_accvgpr_read_b32 v14, a46                                // 000000006504: D3D8400E 1800012E
	v_accvgpr_read_b32 v15, a47                                // 00000000650C: D3D8400F 1800012F
	v_cvt_pk_bf16_f32 v16, v8, v9                              // 000000006514: D2680010 00021308
	v_cvt_pk_bf16_f32 v17, v10, v11                            // 00000000651C: D2680011 0002170A
	v_cvt_pk_bf16_f32 v18, v12, v13                            // 000000006524: D2680012 00021B0C
	v_cvt_pk_bf16_f32 v19, v14, v15                            // 00000000652C: D2680013 00021F0E
	s_nop 1                                                    // 000000006534: BF800001
	v_permlane16_swap_b32_e32 v16, v18                         // 000000006538: 7E20B312
	s_nop 1                                                    // 00000000653C: BF800001
	v_permlane16_swap_b32_e32 v17, v19                         // 000000006540: 7E22B313
	s_nop 1                                                    // 000000006544: BF800001
	buffer_store_dwordx4 v[16:19], v223, s[4:7], 0 offen       // 000000006548: E07C1000 800110DF
	v_add_i32 v223, v223, 64                                   // 000000006550: D29C00DF 000181DF
	v_accvgpr_read_b32 v8, a76                                 // 000000006558: D3D84008 1800014C
	v_accvgpr_read_b32 v9, a77                                 // 000000006560: D3D84009 1800014D
	v_accvgpr_read_b32 v10, a78                                // 000000006568: D3D8400A 1800014E
	v_accvgpr_read_b32 v11, a79                                // 000000006570: D3D8400B 1800014F
	v_accvgpr_read_b32 v12, a108                               // 000000006578: D3D8400C 1800016C
	v_accvgpr_read_b32 v13, a109                               // 000000006580: D3D8400D 1800016D
	v_accvgpr_read_b32 v14, a110                               // 000000006588: D3D8400E 1800016E
	v_accvgpr_read_b32 v15, a111                               // 000000006590: D3D8400F 1800016F
	v_cvt_pk_bf16_f32 v16, v8, v9                              // 000000006598: D2680010 00021308
	v_cvt_pk_bf16_f32 v17, v10, v11                            // 0000000065A0: D2680011 0002170A
	v_cvt_pk_bf16_f32 v18, v12, v13                            // 0000000065A8: D2680012 00021B0C
	v_cvt_pk_bf16_f32 v19, v14, v15                            // 0000000065B0: D2680013 00021F0E
	s_nop 1                                                    // 0000000065B8: BF800001
	v_permlane16_swap_b32_e32 v16, v18                         // 0000000065BC: 7E20B312
	s_nop 1                                                    // 0000000065C0: BF800001
	v_permlane16_swap_b32_e32 v17, v19                         // 0000000065C4: 7E22B313
	s_nop 1                                                    // 0000000065C8: BF800001
	buffer_store_dwordx4 v[16:19], v223, s[4:7], 0 offen       // 0000000065CC: E07C1000 800110DF
	v_add_i32 v223, v223, 64                                   // 0000000065D4: D29C00DF 000181DF
	s_addk_i32 s49, 0x1                                        // 0000000065DC: B7310001
	s_cmp_lt_i32 s49, s50                                      // 0000000065E0: BF043231
	s_cbranch_scc0 label_127D                                  // 0000000065E4: BF84033C
	v_accvgpr_read_b32 v8, a16                                 // 0000000065E8: D3D84008 18000110
	v_accvgpr_read_b32 v9, a17                                 // 0000000065F0: D3D84009 18000111
	v_accvgpr_read_b32 v10, a18                                // 0000000065F8: D3D8400A 18000112
	v_accvgpr_read_b32 v11, a19                                // 000000006600: D3D8400B 18000113
	v_accvgpr_read_b32 v12, a48                                // 000000006608: D3D8400C 18000130
	v_accvgpr_read_b32 v13, a49                                // 000000006610: D3D8400D 18000131
	v_accvgpr_read_b32 v14, a50                                // 000000006618: D3D8400E 18000132
	v_accvgpr_read_b32 v15, a51                                // 000000006620: D3D8400F 18000133
	v_cvt_pk_bf16_f32 v16, v8, v9                              // 000000006628: D2680010 00021308
	v_cvt_pk_bf16_f32 v17, v10, v11                            // 000000006630: D2680011 0002170A
	v_cvt_pk_bf16_f32 v18, v12, v13                            // 000000006638: D2680012 00021B0C
	v_cvt_pk_bf16_f32 v19, v14, v15                            // 000000006640: D2680013 00021F0E
	s_nop 1                                                    // 000000006648: BF800001
	v_permlane16_swap_b32_e32 v16, v18                         // 00000000664C: 7E20B312
	s_nop 1                                                    // 000000006650: BF800001
	v_permlane16_swap_b32_e32 v17, v19                         // 000000006654: 7E22B313
	s_nop 1                                                    // 000000006658: BF800001
	buffer_store_dwordx4 v[16:19], v224, s[4:7], 0 offen       // 00000000665C: E07C1000 800110E0
	v_add_i32 v224, v224, 64                                   // 000000006664: D29C00E0 000181E0
	v_accvgpr_read_b32 v8, a80                                 // 00000000666C: D3D84008 18000150
	v_accvgpr_read_b32 v9, a81                                 // 000000006674: D3D84009 18000151
	v_accvgpr_read_b32 v10, a82                                // 00000000667C: D3D8400A 18000152
	v_accvgpr_read_b32 v11, a83                                // 000000006684: D3D8400B 18000153
	v_accvgpr_read_b32 v12, a112                               // 00000000668C: D3D8400C 18000170
	v_accvgpr_read_b32 v13, a113                               // 000000006694: D3D8400D 18000171
	v_accvgpr_read_b32 v14, a114                               // 00000000669C: D3D8400E 18000172
	v_accvgpr_read_b32 v15, a115                               // 0000000066A4: D3D8400F 18000173
	v_cvt_pk_bf16_f32 v16, v8, v9                              // 0000000066AC: D2680010 00021308
	v_cvt_pk_bf16_f32 v17, v10, v11                            // 0000000066B4: D2680011 0002170A
	v_cvt_pk_bf16_f32 v18, v12, v13                            // 0000000066BC: D2680012 00021B0C
	v_cvt_pk_bf16_f32 v19, v14, v15                            // 0000000066C4: D2680013 00021F0E
	s_nop 1                                                    // 0000000066CC: BF800001
	v_permlane16_swap_b32_e32 v16, v18                         // 0000000066D0: 7E20B312
	s_nop 1                                                    // 0000000066D4: BF800001
	v_permlane16_swap_b32_e32 v17, v19                         // 0000000066D8: 7E22B313
	s_nop 1                                                    // 0000000066DC: BF800001
	buffer_store_dwordx4 v[16:19], v224, s[4:7], 0 offen       // 0000000066E0: E07C1000 800110E0
	v_add_i32 v224, v224, 64                                   // 0000000066E8: D29C00E0 000181E0
	s_addk_i32 s49, 0x1                                        // 0000000066F0: B7310001
	s_cmp_lt_i32 s49, s50                                      // 0000000066F4: BF043231
	s_cbranch_scc0 label_127D                                  // 0000000066F8: BF8402F7
	v_accvgpr_read_b32 v8, a20                                 // 0000000066FC: D3D84008 18000114
	v_accvgpr_read_b32 v9, a21                                 // 000000006704: D3D84009 18000115
	v_accvgpr_read_b32 v10, a22                                // 00000000670C: D3D8400A 18000116
	v_accvgpr_read_b32 v11, a23                                // 000000006714: D3D8400B 18000117
	v_accvgpr_read_b32 v12, a52                                // 00000000671C: D3D8400C 18000134
	v_accvgpr_read_b32 v13, a53                                // 000000006724: D3D8400D 18000135
	v_accvgpr_read_b32 v14, a54                                // 00000000672C: D3D8400E 18000136
	v_accvgpr_read_b32 v15, a55                                // 000000006734: D3D8400F 18000137
	v_cvt_pk_bf16_f32 v16, v8, v9                              // 00000000673C: D2680010 00021308
	v_cvt_pk_bf16_f32 v17, v10, v11                            // 000000006744: D2680011 0002170A
	v_cvt_pk_bf16_f32 v18, v12, v13                            // 00000000674C: D2680012 00021B0C
	v_cvt_pk_bf16_f32 v19, v14, v15                            // 000000006754: D2680013 00021F0E
	s_nop 1                                                    // 00000000675C: BF800001
	v_permlane16_swap_b32_e32 v16, v18                         // 000000006760: 7E20B312
	s_nop 1                                                    // 000000006764: BF800001
	v_permlane16_swap_b32_e32 v17, v19                         // 000000006768: 7E22B313
	s_nop 1                                                    // 00000000676C: BF800001
	buffer_store_dwordx4 v[16:19], v225, s[4:7], 0 offen       // 000000006770: E07C1000 800110E1
	v_add_i32 v225, v225, 64                                   // 000000006778: D29C00E1 000181E1
	v_accvgpr_read_b32 v8, a84                                 // 000000006780: D3D84008 18000154
	v_accvgpr_read_b32 v9, a85                                 // 000000006788: D3D84009 18000155
	v_accvgpr_read_b32 v10, a86                                // 000000006790: D3D8400A 18000156
	v_accvgpr_read_b32 v11, a87                                // 000000006798: D3D8400B 18000157
	v_accvgpr_read_b32 v12, a116                               // 0000000067A0: D3D8400C 18000174
	v_accvgpr_read_b32 v13, a117                               // 0000000067A8: D3D8400D 18000175
	v_accvgpr_read_b32 v14, a118                               // 0000000067B0: D3D8400E 18000176
	v_accvgpr_read_b32 v15, a119                               // 0000000067B8: D3D8400F 18000177
	v_cvt_pk_bf16_f32 v16, v8, v9                              // 0000000067C0: D2680010 00021308
	v_cvt_pk_bf16_f32 v17, v10, v11                            // 0000000067C8: D2680011 0002170A
	v_cvt_pk_bf16_f32 v18, v12, v13                            // 0000000067D0: D2680012 00021B0C
	v_cvt_pk_bf16_f32 v19, v14, v15                            // 0000000067D8: D2680013 00021F0E
	s_nop 1                                                    // 0000000067E0: BF800001
	v_permlane16_swap_b32_e32 v16, v18                         // 0000000067E4: 7E20B312
	s_nop 1                                                    // 0000000067E8: BF800001
	v_permlane16_swap_b32_e32 v17, v19                         // 0000000067EC: 7E22B313
	s_nop 1                                                    // 0000000067F0: BF800001
	buffer_store_dwordx4 v[16:19], v225, s[4:7], 0 offen       // 0000000067F4: E07C1000 800110E1
	v_add_i32 v225, v225, 64                                   // 0000000067FC: D29C00E1 000181E1
	s_addk_i32 s49, 0x1                                        // 000000006804: B7310001
	s_cmp_lt_i32 s49, s50                                      // 000000006808: BF043231
	s_cbranch_scc0 label_127D                                  // 00000000680C: BF8402B2
	v_accvgpr_read_b32 v8, a24                                 // 000000006810: D3D84008 18000118
	v_accvgpr_read_b32 v9, a25                                 // 000000006818: D3D84009 18000119
	v_accvgpr_read_b32 v10, a26                                // 000000006820: D3D8400A 1800011A
	v_accvgpr_read_b32 v11, a27                                // 000000006828: D3D8400B 1800011B
	v_accvgpr_read_b32 v12, a56                                // 000000006830: D3D8400C 18000138
	v_accvgpr_read_b32 v13, a57                                // 000000006838: D3D8400D 18000139
	v_accvgpr_read_b32 v14, a58                                // 000000006840: D3D8400E 1800013A
	v_accvgpr_read_b32 v15, a59                                // 000000006848: D3D8400F 1800013B
	v_cvt_pk_bf16_f32 v16, v8, v9                              // 000000006850: D2680010 00021308
	v_cvt_pk_bf16_f32 v17, v10, v11                            // 000000006858: D2680011 0002170A
	v_cvt_pk_bf16_f32 v18, v12, v13                            // 000000006860: D2680012 00021B0C
	v_cvt_pk_bf16_f32 v19, v14, v15                            // 000000006868: D2680013 00021F0E
	s_nop 1                                                    // 000000006870: BF800001
	v_permlane16_swap_b32_e32 v16, v18                         // 000000006874: 7E20B312
	s_nop 1                                                    // 000000006878: BF800001
	v_permlane16_swap_b32_e32 v17, v19                         // 00000000687C: 7E22B313
	s_nop 1                                                    // 000000006880: BF800001
	buffer_store_dwordx4 v[16:19], v226, s[4:7], 0 offen       // 000000006884: E07C1000 800110E2
	v_add_i32 v226, v226, 64                                   // 00000000688C: D29C00E2 000181E2
	v_accvgpr_read_b32 v8, a88                                 // 000000006894: D3D84008 18000158
	v_accvgpr_read_b32 v9, a89                                 // 00000000689C: D3D84009 18000159
	v_accvgpr_read_b32 v10, a90                                // 0000000068A4: D3D8400A 1800015A
	v_accvgpr_read_b32 v11, a91                                // 0000000068AC: D3D8400B 1800015B
	v_accvgpr_read_b32 v12, a120                               // 0000000068B4: D3D8400C 18000178
	v_accvgpr_read_b32 v13, a121                               // 0000000068BC: D3D8400D 18000179
	v_accvgpr_read_b32 v14, a122                               // 0000000068C4: D3D8400E 1800017A
	v_accvgpr_read_b32 v15, a123                               // 0000000068CC: D3D8400F 1800017B
	v_cvt_pk_bf16_f32 v16, v8, v9                              // 0000000068D4: D2680010 00021308
	v_cvt_pk_bf16_f32 v17, v10, v11                            // 0000000068DC: D2680011 0002170A
	v_cvt_pk_bf16_f32 v18, v12, v13                            // 0000000068E4: D2680012 00021B0C
	v_cvt_pk_bf16_f32 v19, v14, v15                            // 0000000068EC: D2680013 00021F0E
	s_nop 1                                                    // 0000000068F4: BF800001
	v_permlane16_swap_b32_e32 v16, v18                         // 0000000068F8: 7E20B312
	s_nop 1                                                    // 0000000068FC: BF800001
	v_permlane16_swap_b32_e32 v17, v19                         // 000000006900: 7E22B313
	s_nop 1                                                    // 000000006904: BF800001
	buffer_store_dwordx4 v[16:19], v226, s[4:7], 0 offen       // 000000006908: E07C1000 800110E2
	v_add_i32 v226, v226, 64                                   // 000000006910: D29C00E2 000181E2
	s_addk_i32 s49, 0x1                                        // 000000006918: B7310001
	s_cmp_lt_i32 s49, s50                                      // 00000000691C: BF043231
	s_cbranch_scc0 label_127D                                  // 000000006920: BF84026D
	v_accvgpr_read_b32 v8, a28                                 // 000000006924: D3D84008 1800011C
	v_accvgpr_read_b32 v9, a29                                 // 00000000692C: D3D84009 1800011D
	v_accvgpr_read_b32 v10, a30                                // 000000006934: D3D8400A 1800011E
	v_accvgpr_read_b32 v11, a31                                // 00000000693C: D3D8400B 1800011F
	v_accvgpr_read_b32 v12, a60                                // 000000006944: D3D8400C 1800013C
	v_accvgpr_read_b32 v13, a61                                // 00000000694C: D3D8400D 1800013D
	v_accvgpr_read_b32 v14, a62                                // 000000006954: D3D8400E 1800013E
	v_accvgpr_read_b32 v15, a63                                // 00000000695C: D3D8400F 1800013F
	v_cvt_pk_bf16_f32 v16, v8, v9                              // 000000006964: D2680010 00021308
	v_cvt_pk_bf16_f32 v17, v10, v11                            // 00000000696C: D2680011 0002170A
	v_cvt_pk_bf16_f32 v18, v12, v13                            // 000000006974: D2680012 00021B0C
	v_cvt_pk_bf16_f32 v19, v14, v15                            // 00000000697C: D2680013 00021F0E
	s_nop 1                                                    // 000000006984: BF800001
	v_permlane16_swap_b32_e32 v16, v18                         // 000000006988: 7E20B312
	s_nop 1                                                    // 00000000698C: BF800001
	v_permlane16_swap_b32_e32 v17, v19                         // 000000006990: 7E22B313
	s_nop 1                                                    // 000000006994: BF800001
	buffer_store_dwordx4 v[16:19], v227, s[4:7], 0 offen       // 000000006998: E07C1000 800110E3
	v_add_i32 v227, v227, 64                                   // 0000000069A0: D29C00E3 000181E3
	v_accvgpr_read_b32 v8, a92                                 // 0000000069A8: D3D84008 1800015C
	v_accvgpr_read_b32 v9, a93                                 // 0000000069B0: D3D84009 1800015D
	v_accvgpr_read_b32 v10, a94                                // 0000000069B8: D3D8400A 1800015E
	v_accvgpr_read_b32 v11, a95                                // 0000000069C0: D3D8400B 1800015F
	v_accvgpr_read_b32 v12, a124                               // 0000000069C8: D3D8400C 1800017C
	v_accvgpr_read_b32 v13, a125                               // 0000000069D0: D3D8400D 1800017D
	v_accvgpr_read_b32 v14, a126                               // 0000000069D8: D3D8400E 1800017E
	v_accvgpr_read_b32 v15, a127                               // 0000000069E0: D3D8400F 1800017F
	v_cvt_pk_bf16_f32 v16, v8, v9                              // 0000000069E8: D2680010 00021308
	v_cvt_pk_bf16_f32 v17, v10, v11                            // 0000000069F0: D2680011 0002170A
	v_cvt_pk_bf16_f32 v18, v12, v13                            // 0000000069F8: D2680012 00021B0C
	v_cvt_pk_bf16_f32 v19, v14, v15                            // 000000006A00: D2680013 00021F0E
	s_nop 1                                                    // 000000006A08: BF800001
	v_permlane16_swap_b32_e32 v16, v18                         // 000000006A0C: 7E20B312
	s_nop 1                                                    // 000000006A10: BF800001
	v_permlane16_swap_b32_e32 v17, v19                         // 000000006A14: 7E22B313
	s_nop 1                                                    // 000000006A18: BF800001
	buffer_store_dwordx4 v[16:19], v227, s[4:7], 0 offen       // 000000006A1C: E07C1000 800110E3
	v_add_i32 v227, v227, 64                                   // 000000006A24: D29C00E3 000181E3
	s_addk_i32 s49, 0x1                                        // 000000006A2C: B7310001
	s_cmp_lt_i32 s49, s50                                      // 000000006A30: BF043231
	s_cbranch_scc0 label_127D                                  // 000000006A34: BF840228
	v_accvgpr_read_b32 v8, a128                                // 000000006A38: D3D84008 18000180
	v_accvgpr_read_b32 v9, a129                                // 000000006A40: D3D84009 18000181
	v_accvgpr_read_b32 v10, a130                               // 000000006A48: D3D8400A 18000182
	v_accvgpr_read_b32 v11, a131                               // 000000006A50: D3D8400B 18000183
	v_accvgpr_read_b32 v12, a160                               // 000000006A58: D3D8400C 180001A0
	v_accvgpr_read_b32 v13, a161                               // 000000006A60: D3D8400D 180001A1
	v_accvgpr_read_b32 v14, a162                               // 000000006A68: D3D8400E 180001A2
	v_accvgpr_read_b32 v15, a163                               // 000000006A70: D3D8400F 180001A3
	v_cvt_pk_bf16_f32 v16, v8, v9                              // 000000006A78: D2680010 00021308
	v_cvt_pk_bf16_f32 v17, v10, v11                            // 000000006A80: D2680011 0002170A
	v_cvt_pk_bf16_f32 v18, v12, v13                            // 000000006A88: D2680012 00021B0C
	v_cvt_pk_bf16_f32 v19, v14, v15                            // 000000006A90: D2680013 00021F0E
	s_nop 1                                                    // 000000006A98: BF800001
	v_permlane16_swap_b32_e32 v16, v18                         // 000000006A9C: 7E20B312
	s_nop 1                                                    // 000000006AA0: BF800001
	v_permlane16_swap_b32_e32 v17, v19                         // 000000006AA4: 7E22B313
	s_nop 1                                                    // 000000006AA8: BF800001
	buffer_store_dwordx4 v[16:19], v228, s[4:7], 0 offen       // 000000006AAC: E07C1000 800110E4
	v_add_i32 v228, v228, 64                                   // 000000006AB4: D29C00E4 000181E4
	v_accvgpr_read_b32 v8, a192                                // 000000006ABC: D3D84008 180001C0
	v_accvgpr_read_b32 v9, a193                                // 000000006AC4: D3D84009 180001C1
	v_accvgpr_read_b32 v10, a194                               // 000000006ACC: D3D8400A 180001C2
	v_accvgpr_read_b32 v11, a195                               // 000000006AD4: D3D8400B 180001C3
	v_accvgpr_read_b32 v12, a224                               // 000000006ADC: D3D8400C 180001E0
	v_accvgpr_read_b32 v13, a225                               // 000000006AE4: D3D8400D 180001E1
	v_accvgpr_read_b32 v14, a226                               // 000000006AEC: D3D8400E 180001E2
	v_accvgpr_read_b32 v15, a227                               // 000000006AF4: D3D8400F 180001E3
	v_cvt_pk_bf16_f32 v16, v8, v9                              // 000000006AFC: D2680010 00021308
	v_cvt_pk_bf16_f32 v17, v10, v11                            // 000000006B04: D2680011 0002170A
	v_cvt_pk_bf16_f32 v18, v12, v13                            // 000000006B0C: D2680012 00021B0C
	v_cvt_pk_bf16_f32 v19, v14, v15                            // 000000006B14: D2680013 00021F0E
	s_nop 1                                                    // 000000006B1C: BF800001
	v_permlane16_swap_b32_e32 v16, v18                         // 000000006B20: 7E20B312
	s_nop 1                                                    // 000000006B24: BF800001
	v_permlane16_swap_b32_e32 v17, v19                         // 000000006B28: 7E22B313
	s_nop 1                                                    // 000000006B2C: BF800001
	buffer_store_dwordx4 v[16:19], v228, s[4:7], 0 offen       // 000000006B30: E07C1000 800110E4
	v_add_i32 v228, v228, 64                                   // 000000006B38: D29C00E4 000181E4
	s_addk_i32 s49, 0x1                                        // 000000006B40: B7310001
	s_cmp_lt_i32 s49, s50                                      // 000000006B44: BF043231
	s_cbranch_scc0 label_127D                                  // 000000006B48: BF8401E3
	v_accvgpr_read_b32 v8, a132                                // 000000006B4C: D3D84008 18000184
	v_accvgpr_read_b32 v9, a133                                // 000000006B54: D3D84009 18000185
	v_accvgpr_read_b32 v10, a134                               // 000000006B5C: D3D8400A 18000186
	v_accvgpr_read_b32 v11, a135                               // 000000006B64: D3D8400B 18000187
	v_accvgpr_read_b32 v12, a164                               // 000000006B6C: D3D8400C 180001A4
	v_accvgpr_read_b32 v13, a165                               // 000000006B74: D3D8400D 180001A5
	v_accvgpr_read_b32 v14, a166                               // 000000006B7C: D3D8400E 180001A6
	v_accvgpr_read_b32 v15, a167                               // 000000006B84: D3D8400F 180001A7
	v_cvt_pk_bf16_f32 v16, v8, v9                              // 000000006B8C: D2680010 00021308
	v_cvt_pk_bf16_f32 v17, v10, v11                            // 000000006B94: D2680011 0002170A
	v_cvt_pk_bf16_f32 v18, v12, v13                            // 000000006B9C: D2680012 00021B0C
	v_cvt_pk_bf16_f32 v19, v14, v15                            // 000000006BA4: D2680013 00021F0E
	s_nop 1                                                    // 000000006BAC: BF800001
	v_permlane16_swap_b32_e32 v16, v18                         // 000000006BB0: 7E20B312
	s_nop 1                                                    // 000000006BB4: BF800001
	v_permlane16_swap_b32_e32 v17, v19                         // 000000006BB8: 7E22B313
	s_nop 1                                                    // 000000006BBC: BF800001
	buffer_store_dwordx4 v[16:19], v229, s[4:7], 0 offen       // 000000006BC0: E07C1000 800110E5
	v_add_i32 v229, v229, 64                                   // 000000006BC8: D29C00E5 000181E5
	v_accvgpr_read_b32 v8, a196                                // 000000006BD0: D3D84008 180001C4
	v_accvgpr_read_b32 v9, a197                                // 000000006BD8: D3D84009 180001C5
	v_accvgpr_read_b32 v10, a198                               // 000000006BE0: D3D8400A 180001C6
	v_accvgpr_read_b32 v11, a199                               // 000000006BE8: D3D8400B 180001C7
	v_accvgpr_read_b32 v12, a228                               // 000000006BF0: D3D8400C 180001E4
	v_accvgpr_read_b32 v13, a229                               // 000000006BF8: D3D8400D 180001E5
	v_accvgpr_read_b32 v14, a230                               // 000000006C00: D3D8400E 180001E6
	v_accvgpr_read_b32 v15, a231                               // 000000006C08: D3D8400F 180001E7
	v_cvt_pk_bf16_f32 v16, v8, v9                              // 000000006C10: D2680010 00021308
	v_cvt_pk_bf16_f32 v17, v10, v11                            // 000000006C18: D2680011 0002170A
	v_cvt_pk_bf16_f32 v18, v12, v13                            // 000000006C20: D2680012 00021B0C
	v_cvt_pk_bf16_f32 v19, v14, v15                            // 000000006C28: D2680013 00021F0E
	s_nop 1                                                    // 000000006C30: BF800001
	v_permlane16_swap_b32_e32 v16, v18                         // 000000006C34: 7E20B312
	s_nop 1                                                    // 000000006C38: BF800001
	v_permlane16_swap_b32_e32 v17, v19                         // 000000006C3C: 7E22B313
	s_nop 1                                                    // 000000006C40: BF800001
	buffer_store_dwordx4 v[16:19], v229, s[4:7], 0 offen       // 000000006C44: E07C1000 800110E5
	v_add_i32 v229, v229, 64                                   // 000000006C4C: D29C00E5 000181E5
	s_addk_i32 s49, 0x1                                        // 000000006C54: B7310001
	s_cmp_lt_i32 s49, s50                                      // 000000006C58: BF043231
	s_cbranch_scc0 label_127D                                  // 000000006C5C: BF84019E
	v_accvgpr_read_b32 v8, a136                                // 000000006C60: D3D84008 18000188
	v_accvgpr_read_b32 v9, a137                                // 000000006C68: D3D84009 18000189
	v_accvgpr_read_b32 v10, a138                               // 000000006C70: D3D8400A 1800018A
	v_accvgpr_read_b32 v11, a139                               // 000000006C78: D3D8400B 1800018B
	v_accvgpr_read_b32 v12, a168                               // 000000006C80: D3D8400C 180001A8
	v_accvgpr_read_b32 v13, a169                               // 000000006C88: D3D8400D 180001A9
	v_accvgpr_read_b32 v14, a170                               // 000000006C90: D3D8400E 180001AA
	v_accvgpr_read_b32 v15, a171                               // 000000006C98: D3D8400F 180001AB
	v_cvt_pk_bf16_f32 v16, v8, v9                              // 000000006CA0: D2680010 00021308
	v_cvt_pk_bf16_f32 v17, v10, v11                            // 000000006CA8: D2680011 0002170A
	v_cvt_pk_bf16_f32 v18, v12, v13                            // 000000006CB0: D2680012 00021B0C
	v_cvt_pk_bf16_f32 v19, v14, v15                            // 000000006CB8: D2680013 00021F0E
	s_nop 1                                                    // 000000006CC0: BF800001
	v_permlane16_swap_b32_e32 v16, v18                         // 000000006CC4: 7E20B312
	s_nop 1                                                    // 000000006CC8: BF800001
	v_permlane16_swap_b32_e32 v17, v19                         // 000000006CCC: 7E22B313
	s_nop 1                                                    // 000000006CD0: BF800001
	buffer_store_dwordx4 v[16:19], v230, s[4:7], 0 offen       // 000000006CD4: E07C1000 800110E6
	v_add_i32 v230, v230, 64                                   // 000000006CDC: D29C00E6 000181E6
	v_accvgpr_read_b32 v8, a200                                // 000000006CE4: D3D84008 180001C8
	v_accvgpr_read_b32 v9, a201                                // 000000006CEC: D3D84009 180001C9
	v_accvgpr_read_b32 v10, a202                               // 000000006CF4: D3D8400A 180001CA
	v_accvgpr_read_b32 v11, a203                               // 000000006CFC: D3D8400B 180001CB
	v_accvgpr_read_b32 v12, a232                               // 000000006D04: D3D8400C 180001E8
	v_accvgpr_read_b32 v13, a233                               // 000000006D0C: D3D8400D 180001E9
	v_accvgpr_read_b32 v14, a234                               // 000000006D14: D3D8400E 180001EA
	v_accvgpr_read_b32 v15, a235                               // 000000006D1C: D3D8400F 180001EB
	v_cvt_pk_bf16_f32 v16, v8, v9                              // 000000006D24: D2680010 00021308
	v_cvt_pk_bf16_f32 v17, v10, v11                            // 000000006D2C: D2680011 0002170A
	v_cvt_pk_bf16_f32 v18, v12, v13                            // 000000006D34: D2680012 00021B0C
	v_cvt_pk_bf16_f32 v19, v14, v15                            // 000000006D3C: D2680013 00021F0E
	s_nop 1                                                    // 000000006D44: BF800001
	v_permlane16_swap_b32_e32 v16, v18                         // 000000006D48: 7E20B312
	s_nop 1                                                    // 000000006D4C: BF800001
	v_permlane16_swap_b32_e32 v17, v19                         // 000000006D50: 7E22B313
	s_nop 1                                                    // 000000006D54: BF800001
	buffer_store_dwordx4 v[16:19], v230, s[4:7], 0 offen       // 000000006D58: E07C1000 800110E6
	v_add_i32 v230, v230, 64                                   // 000000006D60: D29C00E6 000181E6
	s_addk_i32 s49, 0x1                                        // 000000006D68: B7310001
	s_cmp_lt_i32 s49, s50                                      // 000000006D6C: BF043231
	s_cbranch_scc0 label_127D                                  // 000000006D70: BF840159
	v_accvgpr_read_b32 v8, a140                                // 000000006D74: D3D84008 1800018C
	v_accvgpr_read_b32 v9, a141                                // 000000006D7C: D3D84009 1800018D
	v_accvgpr_read_b32 v10, a142                               // 000000006D84: D3D8400A 1800018E
	v_accvgpr_read_b32 v11, a143                               // 000000006D8C: D3D8400B 1800018F
	v_accvgpr_read_b32 v12, a172                               // 000000006D94: D3D8400C 180001AC
	v_accvgpr_read_b32 v13, a173                               // 000000006D9C: D3D8400D 180001AD
	v_accvgpr_read_b32 v14, a174                               // 000000006DA4: D3D8400E 180001AE
	v_accvgpr_read_b32 v15, a175                               // 000000006DAC: D3D8400F 180001AF
	v_cvt_pk_bf16_f32 v16, v8, v9                              // 000000006DB4: D2680010 00021308
	v_cvt_pk_bf16_f32 v17, v10, v11                            // 000000006DBC: D2680011 0002170A
	v_cvt_pk_bf16_f32 v18, v12, v13                            // 000000006DC4: D2680012 00021B0C
	v_cvt_pk_bf16_f32 v19, v14, v15                            // 000000006DCC: D2680013 00021F0E
	s_nop 1                                                    // 000000006DD4: BF800001
	v_permlane16_swap_b32_e32 v16, v18                         // 000000006DD8: 7E20B312
	s_nop 1                                                    // 000000006DDC: BF800001
	v_permlane16_swap_b32_e32 v17, v19                         // 000000006DE0: 7E22B313
	s_nop 1                                                    // 000000006DE4: BF800001
	buffer_store_dwordx4 v[16:19], v231, s[4:7], 0 offen       // 000000006DE8: E07C1000 800110E7
	v_add_i32 v231, v231, 64                                   // 000000006DF0: D29C00E7 000181E7
	v_accvgpr_read_b32 v8, a204                                // 000000006DF8: D3D84008 180001CC
	v_accvgpr_read_b32 v9, a205                                // 000000006E00: D3D84009 180001CD
	v_accvgpr_read_b32 v10, a206                               // 000000006E08: D3D8400A 180001CE
	v_accvgpr_read_b32 v11, a207                               // 000000006E10: D3D8400B 180001CF
	v_accvgpr_read_b32 v12, a236                               // 000000006E18: D3D8400C 180001EC
	v_accvgpr_read_b32 v13, a237                               // 000000006E20: D3D8400D 180001ED
	v_accvgpr_read_b32 v14, a238                               // 000000006E28: D3D8400E 180001EE
	v_accvgpr_read_b32 v15, a239                               // 000000006E30: D3D8400F 180001EF
	v_cvt_pk_bf16_f32 v16, v8, v9                              // 000000006E38: D2680010 00021308
	v_cvt_pk_bf16_f32 v17, v10, v11                            // 000000006E40: D2680011 0002170A
	v_cvt_pk_bf16_f32 v18, v12, v13                            // 000000006E48: D2680012 00021B0C
	v_cvt_pk_bf16_f32 v19, v14, v15                            // 000000006E50: D2680013 00021F0E
	s_nop 1                                                    // 000000006E58: BF800001
	v_permlane16_swap_b32_e32 v16, v18                         // 000000006E5C: 7E20B312
	s_nop 1                                                    // 000000006E60: BF800001
	v_permlane16_swap_b32_e32 v17, v19                         // 000000006E64: 7E22B313
	s_nop 1                                                    // 000000006E68: BF800001
	buffer_store_dwordx4 v[16:19], v231, s[4:7], 0 offen       // 000000006E6C: E07C1000 800110E7
	v_add_i32 v231, v231, 64                                   // 000000006E74: D29C00E7 000181E7
	s_addk_i32 s49, 0x1                                        // 000000006E7C: B7310001
	s_cmp_lt_i32 s49, s50                                      // 000000006E80: BF043231
	s_cbranch_scc0 label_127D                                  // 000000006E84: BF840114
	v_accvgpr_read_b32 v8, a144                                // 000000006E88: D3D84008 18000190
	v_accvgpr_read_b32 v9, a145                                // 000000006E90: D3D84009 18000191
	v_accvgpr_read_b32 v10, a146                               // 000000006E98: D3D8400A 18000192
	v_accvgpr_read_b32 v11, a147                               // 000000006EA0: D3D8400B 18000193
	v_accvgpr_read_b32 v12, a176                               // 000000006EA8: D3D8400C 180001B0
	v_accvgpr_read_b32 v13, a177                               // 000000006EB0: D3D8400D 180001B1
	v_accvgpr_read_b32 v14, a178                               // 000000006EB8: D3D8400E 180001B2
	v_accvgpr_read_b32 v15, a179                               // 000000006EC0: D3D8400F 180001B3
	v_cvt_pk_bf16_f32 v16, v8, v9                              // 000000006EC8: D2680010 00021308
	v_cvt_pk_bf16_f32 v17, v10, v11                            // 000000006ED0: D2680011 0002170A
	v_cvt_pk_bf16_f32 v18, v12, v13                            // 000000006ED8: D2680012 00021B0C
	v_cvt_pk_bf16_f32 v19, v14, v15                            // 000000006EE0: D2680013 00021F0E
	s_nop 1                                                    // 000000006EE8: BF800001
	v_permlane16_swap_b32_e32 v16, v18                         // 000000006EEC: 7E20B312
	s_nop 1                                                    // 000000006EF0: BF800001
	v_permlane16_swap_b32_e32 v17, v19                         // 000000006EF4: 7E22B313
	s_nop 1                                                    // 000000006EF8: BF800001
	buffer_store_dwordx4 v[16:19], v232, s[4:7], 0 offen       // 000000006EFC: E07C1000 800110E8
	v_add_i32 v232, v232, 64                                   // 000000006F04: D29C00E8 000181E8
	v_accvgpr_read_b32 v8, a208                                // 000000006F0C: D3D84008 180001D0
	v_accvgpr_read_b32 v9, a209                                // 000000006F14: D3D84009 180001D1
	v_accvgpr_read_b32 v10, a210                               // 000000006F1C: D3D8400A 180001D2
	v_accvgpr_read_b32 v11, a211                               // 000000006F24: D3D8400B 180001D3
	v_accvgpr_read_b32 v12, a240                               // 000000006F2C: D3D8400C 180001F0
	v_accvgpr_read_b32 v13, a241                               // 000000006F34: D3D8400D 180001F1
	v_accvgpr_read_b32 v14, a242                               // 000000006F3C: D3D8400E 180001F2
	v_accvgpr_read_b32 v15, a243                               // 000000006F44: D3D8400F 180001F3
	v_cvt_pk_bf16_f32 v16, v8, v9                              // 000000006F4C: D2680010 00021308
	v_cvt_pk_bf16_f32 v17, v10, v11                            // 000000006F54: D2680011 0002170A
	v_cvt_pk_bf16_f32 v18, v12, v13                            // 000000006F5C: D2680012 00021B0C
	v_cvt_pk_bf16_f32 v19, v14, v15                            // 000000006F64: D2680013 00021F0E
	s_nop 1                                                    // 000000006F6C: BF800001
	v_permlane16_swap_b32_e32 v16, v18                         // 000000006F70: 7E20B312
	s_nop 1                                                    // 000000006F74: BF800001
	v_permlane16_swap_b32_e32 v17, v19                         // 000000006F78: 7E22B313
	s_nop 1                                                    // 000000006F7C: BF800001
	buffer_store_dwordx4 v[16:19], v232, s[4:7], 0 offen       // 000000006F80: E07C1000 800110E8
	v_add_i32 v232, v232, 64                                   // 000000006F88: D29C00E8 000181E8
	s_addk_i32 s49, 0x1                                        // 000000006F90: B7310001
	s_cmp_lt_i32 s49, s50                                      // 000000006F94: BF043231
	s_cbranch_scc0 label_127D                                  // 000000006F98: BF8400CF
	v_accvgpr_read_b32 v8, a148                                // 000000006F9C: D3D84008 18000194
	v_accvgpr_read_b32 v9, a149                                // 000000006FA4: D3D84009 18000195
	v_accvgpr_read_b32 v10, a150                               // 000000006FAC: D3D8400A 18000196
	v_accvgpr_read_b32 v11, a151                               // 000000006FB4: D3D8400B 18000197
	v_accvgpr_read_b32 v12, a180                               // 000000006FBC: D3D8400C 180001B4
	v_accvgpr_read_b32 v13, a181                               // 000000006FC4: D3D8400D 180001B5
	v_accvgpr_read_b32 v14, a182                               // 000000006FCC: D3D8400E 180001B6
	v_accvgpr_read_b32 v15, a183                               // 000000006FD4: D3D8400F 180001B7
	v_cvt_pk_bf16_f32 v16, v8, v9                              // 000000006FDC: D2680010 00021308
	v_cvt_pk_bf16_f32 v17, v10, v11                            // 000000006FE4: D2680011 0002170A
	v_cvt_pk_bf16_f32 v18, v12, v13                            // 000000006FEC: D2680012 00021B0C
	v_cvt_pk_bf16_f32 v19, v14, v15                            // 000000006FF4: D2680013 00021F0E
	s_nop 1                                                    // 000000006FFC: BF800001
	v_permlane16_swap_b32_e32 v16, v18                         // 000000007000: 7E20B312
	s_nop 1                                                    // 000000007004: BF800001
	v_permlane16_swap_b32_e32 v17, v19                         // 000000007008: 7E22B313
	s_nop 1                                                    // 00000000700C: BF800001
	buffer_store_dwordx4 v[16:19], v233, s[4:7], 0 offen       // 000000007010: E07C1000 800110E9
	v_add_i32 v233, v233, 64                                   // 000000007018: D29C00E9 000181E9
	v_accvgpr_read_b32 v8, a212                                // 000000007020: D3D84008 180001D4
	v_accvgpr_read_b32 v9, a213                                // 000000007028: D3D84009 180001D5
	v_accvgpr_read_b32 v10, a214                               // 000000007030: D3D8400A 180001D6
	v_accvgpr_read_b32 v11, a215                               // 000000007038: D3D8400B 180001D7
	v_accvgpr_read_b32 v12, a244                               // 000000007040: D3D8400C 180001F4
	v_accvgpr_read_b32 v13, a245                               // 000000007048: D3D8400D 180001F5
	v_accvgpr_read_b32 v14, a246                               // 000000007050: D3D8400E 180001F6
	v_accvgpr_read_b32 v15, a247                               // 000000007058: D3D8400F 180001F7
	v_cvt_pk_bf16_f32 v16, v8, v9                              // 000000007060: D2680010 00021308
	v_cvt_pk_bf16_f32 v17, v10, v11                            // 000000007068: D2680011 0002170A
	v_cvt_pk_bf16_f32 v18, v12, v13                            // 000000007070: D2680012 00021B0C
	v_cvt_pk_bf16_f32 v19, v14, v15                            // 000000007078: D2680013 00021F0E
	s_nop 1                                                    // 000000007080: BF800001
	v_permlane16_swap_b32_e32 v16, v18                         // 000000007084: 7E20B312
	s_nop 1                                                    // 000000007088: BF800001
	v_permlane16_swap_b32_e32 v17, v19                         // 00000000708C: 7E22B313
	s_nop 1                                                    // 000000007090: BF800001
	buffer_store_dwordx4 v[16:19], v233, s[4:7], 0 offen       // 000000007094: E07C1000 800110E9
	v_add_i32 v233, v233, 64                                   // 00000000709C: D29C00E9 000181E9
	s_addk_i32 s49, 0x1                                        // 0000000070A4: B7310001
	s_cmp_lt_i32 s49, s50                                      // 0000000070A8: BF043231
	s_cbranch_scc0 label_127D                                  // 0000000070AC: BF84008A
	v_accvgpr_read_b32 v8, a152                                // 0000000070B0: D3D84008 18000198
	v_accvgpr_read_b32 v9, a153                                // 0000000070B8: D3D84009 18000199
	v_accvgpr_read_b32 v10, a154                               // 0000000070C0: D3D8400A 1800019A
	v_accvgpr_read_b32 v11, a155                               // 0000000070C8: D3D8400B 1800019B
	v_accvgpr_read_b32 v12, a184                               // 0000000070D0: D3D8400C 180001B8
	v_accvgpr_read_b32 v13, a185                               // 0000000070D8: D3D8400D 180001B9
	v_accvgpr_read_b32 v14, a186                               // 0000000070E0: D3D8400E 180001BA
	v_accvgpr_read_b32 v15, a187                               // 0000000070E8: D3D8400F 180001BB
	v_cvt_pk_bf16_f32 v16, v8, v9                              // 0000000070F0: D2680010 00021308
	v_cvt_pk_bf16_f32 v17, v10, v11                            // 0000000070F8: D2680011 0002170A
	v_cvt_pk_bf16_f32 v18, v12, v13                            // 000000007100: D2680012 00021B0C
	v_cvt_pk_bf16_f32 v19, v14, v15                            // 000000007108: D2680013 00021F0E
	s_nop 1                                                    // 000000007110: BF800001
	v_permlane16_swap_b32_e32 v16, v18                         // 000000007114: 7E20B312
	s_nop 1                                                    // 000000007118: BF800001
	v_permlane16_swap_b32_e32 v17, v19                         // 00000000711C: 7E22B313
	s_nop 1                                                    // 000000007120: BF800001
	buffer_store_dwordx4 v[16:19], v234, s[4:7], 0 offen       // 000000007124: E07C1000 800110EA
	v_add_i32 v234, v234, 64                                   // 00000000712C: D29C00EA 000181EA
	v_accvgpr_read_b32 v8, a216                                // 000000007134: D3D84008 180001D8
	v_accvgpr_read_b32 v9, a217                                // 00000000713C: D3D84009 180001D9
	v_accvgpr_read_b32 v10, a218                               // 000000007144: D3D8400A 180001DA
	v_accvgpr_read_b32 v11, a219                               // 00000000714C: D3D8400B 180001DB
	v_accvgpr_read_b32 v12, a248                               // 000000007154: D3D8400C 180001F8
	v_accvgpr_read_b32 v13, a249                               // 00000000715C: D3D8400D 180001F9
	v_accvgpr_read_b32 v14, a250                               // 000000007164: D3D8400E 180001FA
	v_accvgpr_read_b32 v15, a251                               // 00000000716C: D3D8400F 180001FB
	v_cvt_pk_bf16_f32 v16, v8, v9                              // 000000007174: D2680010 00021308
	v_cvt_pk_bf16_f32 v17, v10, v11                            // 00000000717C: D2680011 0002170A
	v_cvt_pk_bf16_f32 v18, v12, v13                            // 000000007184: D2680012 00021B0C
	v_cvt_pk_bf16_f32 v19, v14, v15                            // 00000000718C: D2680013 00021F0E
	s_nop 1                                                    // 000000007194: BF800001
	v_permlane16_swap_b32_e32 v16, v18                         // 000000007198: 7E20B312
	s_nop 1                                                    // 00000000719C: BF800001
	v_permlane16_swap_b32_e32 v17, v19                         // 0000000071A0: 7E22B313
	s_nop 1                                                    // 0000000071A4: BF800001
	buffer_store_dwordx4 v[16:19], v234, s[4:7], 0 offen       // 0000000071A8: E07C1000 800110EA
	v_add_i32 v234, v234, 64                                   // 0000000071B0: D29C00EA 000181EA
	s_addk_i32 s49, 0x1                                        // 0000000071B8: B7310001
	s_cmp_lt_i32 s49, s50                                      // 0000000071BC: BF043231
	s_cbranch_scc0 label_127D                                  // 0000000071C0: BF840045
	v_accvgpr_read_b32 v8, a156                                // 0000000071C4: D3D84008 1800019C
	v_accvgpr_read_b32 v9, a157                                // 0000000071CC: D3D84009 1800019D
	v_accvgpr_read_b32 v10, a158                               // 0000000071D4: D3D8400A 1800019E
	v_accvgpr_read_b32 v11, a159                               // 0000000071DC: D3D8400B 1800019F
	v_accvgpr_read_b32 v12, a188                               // 0000000071E4: D3D8400C 180001BC
	v_accvgpr_read_b32 v13, a189                               // 0000000071EC: D3D8400D 180001BD
	v_accvgpr_read_b32 v14, a190                               // 0000000071F4: D3D8400E 180001BE
	v_accvgpr_read_b32 v15, a191                               // 0000000071FC: D3D8400F 180001BF
	v_cvt_pk_bf16_f32 v16, v8, v9                              // 000000007204: D2680010 00021308
	v_cvt_pk_bf16_f32 v17, v10, v11                            // 00000000720C: D2680011 0002170A
	v_cvt_pk_bf16_f32 v18, v12, v13                            // 000000007214: D2680012 00021B0C
	v_cvt_pk_bf16_f32 v19, v14, v15                            // 00000000721C: D2680013 00021F0E
	s_nop 1                                                    // 000000007224: BF800001
	v_permlane16_swap_b32_e32 v16, v18                         // 000000007228: 7E20B312
	s_nop 1                                                    // 00000000722C: BF800001
	v_permlane16_swap_b32_e32 v17, v19                         // 000000007230: 7E22B313
	s_nop 1                                                    // 000000007234: BF800001
	buffer_store_dwordx4 v[16:19], v235, s[4:7], 0 offen       // 000000007238: E07C1000 800110EB
	v_add_i32 v235, v235, 64                                   // 000000007240: D29C00EB 000181EB
	v_accvgpr_read_b32 v8, a220                                // 000000007248: D3D84008 180001DC
	v_accvgpr_read_b32 v9, a221                                // 000000007250: D3D84009 180001DD
	v_accvgpr_read_b32 v10, a222                               // 000000007258: D3D8400A 180001DE
	v_accvgpr_read_b32 v11, a223                               // 000000007260: D3D8400B 180001DF
	v_accvgpr_read_b32 v12, a252                               // 000000007268: D3D8400C 180001FC
	v_accvgpr_read_b32 v13, a253                               // 000000007270: D3D8400D 180001FD
	v_accvgpr_read_b32 v14, a254                               // 000000007278: D3D8400E 180001FE
	v_accvgpr_read_b32 v15, a255                               // 000000007280: D3D8400F 180001FF
	v_cvt_pk_bf16_f32 v16, v8, v9                              // 000000007288: D2680010 00021308
	v_cvt_pk_bf16_f32 v17, v10, v11                            // 000000007290: D2680011 0002170A
	v_cvt_pk_bf16_f32 v18, v12, v13                            // 000000007298: D2680012 00021B0C
	v_cvt_pk_bf16_f32 v19, v14, v15                            // 0000000072A0: D2680013 00021F0E
	s_nop 1                                                    // 0000000072A8: BF800001
	v_permlane16_swap_b32_e32 v16, v18                         // 0000000072AC: 7E20B312
	s_nop 1                                                    // 0000000072B0: BF800001
	v_permlane16_swap_b32_e32 v17, v19                         // 0000000072B4: 7E22B313
	s_nop 1                                                    // 0000000072B8: BF800001
	buffer_store_dwordx4 v[16:19], v235, s[4:7], 0 offen       // 0000000072BC: E07C1000 800110EB
	v_add_i32 v235, v235, 64                                   // 0000000072C4: D29C00EB 000181EB
	s_addk_i32 s49, 0x1                                        // 0000000072CC: B7310001
	s_cmp_lt_i32 s49, s50                                      // 0000000072D0: BF043231
	s_cbranch_scc0 label_127D                                  // 0000000072D4: BF840000

00000000000072d8 <label_127D>:
	s_waitcnt vmcnt(0) expcnt(0) lgkmcnt(0)                    // 0000000072D8: BF8C0000
	s_endpgm                                                   // 0000000072DC: BF810000
